;; amdgpu-corpus repo=ROCm/rocFFT kind=compiled arch=gfx1201 opt=O3
	.text
	.amdgcn_target "amdgcn-amd-amdhsa--gfx1201"
	.amdhsa_code_object_version 6
	.protected	bluestein_single_back_len544_dim1_half_op_CI_CI ; -- Begin function bluestein_single_back_len544_dim1_half_op_CI_CI
	.globl	bluestein_single_back_len544_dim1_half_op_CI_CI
	.p2align	8
	.type	bluestein_single_back_len544_dim1_half_op_CI_CI,@function
bluestein_single_back_len544_dim1_half_op_CI_CI: ; @bluestein_single_back_len544_dim1_half_op_CI_CI
; %bb.0:
	s_load_b128 s[8:11], s[0:1], 0x28
	v_mul_u32_u24_e32 v1, 0x788, v0
	s_mov_b32 s2, exec_lo
	s_delay_alu instid0(VALU_DEP_1) | instskip(NEXT) | instid1(VALU_DEP_1)
	v_lshrrev_b32_e32 v1, 16, v1
	v_mad_co_u64_u32 v[15:16], null, ttmp9, 3, v[1:2]
	v_mov_b32_e32 v16, 0
                                        ; kill: def $vgpr2 killed $sgpr0 killed $exec
	s_wait_kmcnt 0x0
	s_delay_alu instid0(VALU_DEP_1)
	v_cmpx_gt_u64_e64 s[8:9], v[15:16]
	s_cbranch_execz .LBB0_15
; %bb.1:
	v_mul_hi_u32 v2, 0xaaaaaaab, v15
	v_mul_lo_u16 v1, v1, 34
	s_clause 0x1
	s_load_b64 s[8:9], s[0:1], 0x0
	s_load_b64 s[12:13], s[0:1], 0x38
	s_delay_alu instid0(VALU_DEP_1) | instskip(NEXT) | instid1(VALU_DEP_3)
	v_sub_nc_u16 v0, v0, v1
	v_lshrrev_b32_e32 v1, 1, v2
	s_delay_alu instid0(VALU_DEP_2) | instskip(SKIP_1) | instid1(VALU_DEP_3)
	v_and_b32_e32 v49, 0xffff, v0
	v_cmp_gt_u16_e32 vcc_lo, 32, v0
	v_lshl_add_u32 v0, v1, 1, v1
	s_delay_alu instid0(VALU_DEP_3) | instskip(SKIP_1) | instid1(VALU_DEP_3)
	v_lshlrev_b32_e32 v33, 2, v49
	v_or_b32_e32 v48, 32, v49
	v_sub_nc_u32_e32 v0, v15, v0
	v_or_b32_e32 v47, 64, v49
	v_or_b32_e32 v46, 0x60, v49
	;; [unrolled: 1-line block ×4, first 2 shown]
	v_mul_u32_u24_e32 v14, 0x220, v0
	v_or_b32_e32 v43, 0xc0, v49
	v_or_b32_e32 v42, 0xe0, v49
	;; [unrolled: 1-line block ×11, first 2 shown]
	v_lshlrev_b32_e32 v50, 2, v0
	v_or_b32_e32 v32, 0x200, v49
	s_and_saveexec_b32 s3, vcc_lo
	s_cbranch_execz .LBB0_3
; %bb.2:
	s_load_b64 s[4:5], s[0:1], 0x18
	s_wait_kmcnt 0x0
	s_load_b128 s[4:7], s[4:5], 0x0
	s_wait_kmcnt 0x0
	v_mad_co_u64_u32 v[0:1], null, s6, v15, 0
	v_mad_co_u64_u32 v[2:3], null, s4, v49, 0
	;; [unrolled: 1-line block ×14, first 2 shown]
	v_mov_b32_e32 v1, v20
	v_mad_co_u64_u32 v[16:17], null, s4, v43, 0
	v_mad_co_u64_u32 v[18:19], null, s4, v42, 0
	s_delay_alu instid0(VALU_DEP_3)
	v_lshlrev_b64_e32 v[0:1], 2, v[0:1]
	v_mov_b32_e32 v3, v21
	v_mov_b32_e32 v11, v25
	v_mov_b32_e32 v13, v26
	v_mov_b32_e32 v5, v22
	v_mov_b32_e32 v7, v23
	v_lshlrev_b64_e32 v[2:3], 2, v[2:3]
	v_add_co_u32 v26, s2, s10, v0
	v_mad_co_u64_u32 v[27:28], null, s5, v43, v[17:18]
	v_add_co_ci_u32_e64 v28, s2, s11, v1, s2
	v_lshlrev_b64_e32 v[0:1], 2, v[10:11]
	v_lshlrev_b64_e32 v[10:11], 2, v[12:13]
	v_mad_co_u64_u32 v[12:13], null, s5, v42, v[19:20]
	v_mad_co_u64_u32 v[20:21], null, s4, v41, 0
	v_lshlrev_b64_e32 v[4:5], 2, v[4:5]
	v_mov_b32_e32 v9, v24
	v_lshlrev_b64_e32 v[6:7], 2, v[6:7]
	v_add_co_u32 v2, s2, v26, v2
	s_wait_alu 0xf1ff
	v_add_co_ci_u32_e64 v3, s2, v28, v3, s2
	v_lshlrev_b64_e32 v[8:9], 2, v[8:9]
	v_add_co_u32 v4, s2, v26, v4
	v_dual_mov_b32 v19, v12 :: v_dual_mov_b32 v12, v21
	v_mad_co_u64_u32 v[22:23], null, s4, v40, 0
	s_wait_alu 0xf1ff
	v_add_co_ci_u32_e64 v5, s2, v28, v5, s2
	v_add_co_u32 v6, s2, v26, v6
	v_mov_b32_e32 v17, v27
	s_wait_alu 0xf1ff
	v_add_co_ci_u32_e64 v7, s2, v28, v7, s2
	v_add_co_u32 v8, s2, v26, v8
	v_mad_co_u64_u32 v[12:13], null, s5, v41, v[12:13]
	v_mad_co_u64_u32 v[24:25], null, s4, v39, 0
	s_wait_alu 0xf1ff
	v_add_co_ci_u32_e64 v9, s2, v28, v9, s2
	v_add_co_u32 v0, s2, v26, v0
	v_lshlrev_b64_e32 v[16:17], 2, v[16:17]
	v_mov_b32_e32 v13, v23
	s_wait_alu 0xf1ff
	v_add_co_ci_u32_e64 v1, s2, v28, v1, s2
	v_add_co_u32 v10, s2, v26, v10
	v_lshlrev_b64_e32 v[18:19], 2, v[18:19]
	s_wait_alu 0xf1ff
	v_add_co_ci_u32_e64 v11, s2, v28, v11, s2
	v_mov_b32_e32 v21, v12
	v_mad_co_u64_u32 v[12:13], null, s5, v40, v[13:14]
	v_add_co_u32 v16, s2, v26, v16
	v_mov_b32_e32 v13, v25
	s_wait_alu 0xf1ff
	v_add_co_ci_u32_e64 v17, s2, v28, v17, s2
	v_add_co_u32 v18, s2, v26, v18
	s_wait_alu 0xf1ff
	v_add_co_ci_u32_e64 v19, s2, v28, v19, s2
	s_clause 0x7
	global_load_b32 v27, v[2:3], off
	global_load_b32 v29, v[4:5], off
	global_load_b32 v30, v[6:7], off
	global_load_b32 v31, v[8:9], off
	global_load_b32 v51, v[0:1], off
	global_load_b32 v52, v[10:11], off
	global_load_b32 v53, v[16:17], off
	global_load_b32 v54, v[18:19], off
	v_mad_co_u64_u32 v[2:3], null, s5, v39, v[13:14]
	v_mad_co_u64_u32 v[3:4], null, s4, v38, 0
	;; [unrolled: 1-line block ×3, first 2 shown]
	v_mov_b32_e32 v23, v12
	v_mad_co_u64_u32 v[12:13], null, s4, v36, 0
	s_delay_alu instid0(VALU_DEP_4) | instskip(SKIP_1) | instid1(VALU_DEP_4)
	v_dual_mov_b32 v25, v2 :: v_dual_mov_b32 v2, v4
	v_lshlrev_b64_e32 v[0:1], 2, v[20:21]
	v_lshlrev_b64_e32 v[5:6], 2, v[22:23]
	v_mad_co_u64_u32 v[22:23], null, s4, v32, 0
	s_delay_alu instid0(VALU_DEP_4)
	v_mad_co_u64_u32 v[7:8], null, s5, v38, v[2:3]
	v_mov_b32_e32 v2, v11
	v_add_co_u32 v0, s2, v26, v0
	v_lshlrev_b64_e32 v[8:9], 2, v[24:25]
	s_wait_alu 0xf1ff
	v_add_co_ci_u32_e64 v1, s2, v28, v1, s2
	v_mov_b32_e32 v4, v7
	v_add_co_u32 v5, s2, v26, v5
	s_wait_alu 0xf1ff
	v_add_co_ci_u32_e64 v6, s2, v28, v6, s2
	s_delay_alu instid0(VALU_DEP_3)
	v_lshlrev_b64_e32 v[3:4], 2, v[3:4]
	v_add_co_u32 v7, s2, v26, v8
	s_wait_alu 0xf1ff
	v_add_co_ci_u32_e64 v8, s2, v28, v9, s2
	s_clause 0x7
	global_load_b32 v55, v33, s[8:9]
	global_load_b32 v56, v33, s[8:9] offset:128
	global_load_b32 v57, v33, s[8:9] offset:256
	;; [unrolled: 1-line block ×7, first 2 shown]
	v_mad_co_u64_u32 v[16:17], null, s5, v37, v[2:3]
	v_mov_b32_e32 v2, v13
	v_mad_co_u64_u32 v[17:18], null, s4, v35, 0
	s_clause 0x8
	global_load_b32 v63, v33, s[8:9] offset:1024
	global_load_b32 v64, v33, s[8:9] offset:1152
	;; [unrolled: 1-line block ×9, first 2 shown]
	v_mad_co_u64_u32 v[19:20], null, s5, v36, v[2:3]
	v_mad_co_u64_u32 v[20:21], null, s4, v34, 0
	v_mov_b32_e32 v2, v18
	v_add_co_u32 v3, s2, v26, v3
	v_mov_b32_e32 v11, v16
	v_mov_b32_e32 v13, v19
	s_wait_alu 0xf1ff
	v_add_co_ci_u32_e64 v4, s2, v28, v4, s2
	v_mad_co_u64_u32 v[18:19], null, s5, v35, v[2:3]
	v_mov_b32_e32 v2, v21
	v_lshlrev_b64_e32 v[9:10], 2, v[10:11]
	v_lshlrev_b64_e32 v[11:12], 2, v[12:13]
	s_delay_alu instid0(VALU_DEP_3)
	v_mad_co_u64_u32 v[24:25], null, s5, v34, v[2:3]
	v_mov_b32_e32 v2, v23
	v_lshlrev_b64_e32 v[16:17], 2, v[17:18]
	v_add_co_u32 v9, s2, v26, v9
	s_wait_alu 0xf1ff
	v_add_co_ci_u32_e64 v10, s2, v28, v10, s2
	v_mad_co_u64_u32 v[18:19], null, s5, v32, v[2:3]
	v_mov_b32_e32 v21, v24
	v_add_co_u32 v11, s2, v26, v11
	s_wait_alu 0xf1ff
	v_add_co_ci_u32_e64 v12, s2, v28, v12, s2
	s_clause 0x5
	global_load_b32 v13, v[0:1], off
	global_load_b32 v6, v[5:6], off
	global_load_b32 v7, v[7:8], off
	global_load_b32 v8, v[3:4], off
	global_load_b32 v9, v[9:10], off
	global_load_b32 v10, v[11:12], off
	v_mov_b32_e32 v23, v18
	v_lshlrev_b64_e32 v[0:1], 2, v[20:21]
	v_add_co_u32 v2, s2, v26, v16
	s_wait_alu 0xf1ff
	v_add_co_ci_u32_e64 v3, s2, v28, v17, s2
	v_lshlrev_b64_e32 v[4:5], 2, v[22:23]
	s_delay_alu instid0(VALU_DEP_4) | instskip(SKIP_2) | instid1(VALU_DEP_3)
	v_add_co_u32 v0, s2, v26, v0
	s_wait_alu 0xf1ff
	v_add_co_ci_u32_e64 v1, s2, v28, v1, s2
	v_add_co_u32 v4, s2, v26, v4
	s_wait_alu 0xf1ff
	v_add_co_ci_u32_e64 v5, s2, v28, v5, s2
	s_clause 0x2
	global_load_b32 v2, v[2:3], off
	global_load_b32 v0, v[0:1], off
	global_load_b32 v1, v[4:5], off
	v_lshl_add_u32 v3, v14, 2, v33
	s_delay_alu instid0(VALU_DEP_1)
	v_add_nc_u32_e32 v4, 0x200, v3
	v_add_nc_u32_e32 v5, 0x400, v3
	;; [unrolled: 1-line block ×3, first 2 shown]
	s_wait_loadcnt 0x21
	v_lshrrev_b32_e32 v76, 16, v27
	s_wait_loadcnt 0x20
	v_lshrrev_b32_e32 v78, 16, v29
	;; [unrolled: 2-line block ×25, first 2 shown]
	v_mul_f16_e32 v77, v12, v27
	v_mul_f16_e32 v12, v12, v76
	;; [unrolled: 1-line block ×16, first 2 shown]
	v_fma_f16 v76, v55, v76, -v77
	v_fmac_f16_e32 v12, v55, v27
	v_fma_f16 v77, v56, v78, -v79
	v_fma_f16 v78, v57, v80, -v81
	v_fmac_f16_e32 v16, v56, v29
	v_fmac_f16_e32 v17, v57, v30
	v_fma_f16 v79, v58, v82, -v83
	v_fma_f16 v80, v59, v84, -v85
	v_fmac_f16_e32 v18, v58, v31
	v_fmac_f16_e32 v19, v59, v51
	s_wait_loadcnt 0x8
	v_lshrrev_b32_e32 v92, 16, v13
	s_wait_loadcnt 0x7
	v_lshrrev_b32_e32 v94, 16, v6
	;; [unrolled: 2-line block ×6, first 2 shown]
	v_mul_f16_e32 v93, v23, v13
	v_mul_f16_e32 v23, v23, v92
	v_mul_f16_e32 v95, v24, v6
	v_mul_f16_e32 v97, v25, v7
	v_mul_f16_e32 v99, v26, v8
	v_mul_f16_e32 v101, v28, v9
	v_mul_f16_e32 v103, v72, v10
	v_mul_f16_e32 v24, v24, v94
	v_mul_f16_e32 v25, v25, v96
	v_mul_f16_e32 v26, v26, v98
	v_mul_f16_e32 v28, v28, v100
	v_mul_f16_e32 v72, v72, v102
	v_fma_f16 v81, v60, v86, -v87
	v_fma_f16 v82, v61, v88, -v89
	v_fmac_f16_e32 v20, v60, v52
	s_wait_loadcnt 0x2
	v_lshrrev_b32_e32 v104, 16, v2
	s_wait_loadcnt 0x1
	v_lshrrev_b32_e32 v106, 16, v0
	s_wait_loadcnt 0x0
	v_lshrrev_b32_e32 v108, 16, v1
	v_mul_f16_e32 v105, v73, v2
	v_mul_f16_e32 v107, v74, v0
	;; [unrolled: 1-line block ×6, first 2 shown]
	v_fmac_f16_e32 v21, v61, v53
	v_fma_f16 v83, v62, v90, -v91
	v_fma_f16 v84, v63, v92, -v93
	v_fmac_f16_e32 v22, v62, v54
	v_fmac_f16_e32 v23, v63, v13
	v_fma_f16 v85, v64, v94, -v95
	v_fma_f16 v86, v65, v96, -v97
	;; [unrolled: 1-line block ×8, first 2 shown]
	v_fmac_f16_e32 v24, v64, v6
	v_fmac_f16_e32 v25, v65, v7
	;; [unrolled: 1-line block ×8, first 2 shown]
	v_pack_b32_f16 v0, v12, v76
	v_pack_b32_f16 v1, v16, v77
	;; [unrolled: 1-line block ×17, first 2 shown]
	ds_store_b32 v50, v0
	ds_store_2addr_b32 v3, v1, v2 offset0:32 offset1:64
	ds_store_2addr_b32 v3, v6, v7 offset0:96 offset1:128
	;; [unrolled: 1-line block ×8, first 2 shown]
.LBB0_3:
	s_or_b32 exec_lo, exec_lo, s3
	s_clause 0x1
	s_load_b64 s[4:5], s[0:1], 0x20
	s_load_b64 s[2:3], s[0:1], 0x8
	v_dual_mov_b32 v25, 0 :: v_dual_lshlrev_b32 v52, 2, v14
                                        ; kill: def $vgpr0 killed $sgpr0 killed $exec
	global_wb scope:SCOPE_SE
	s_wait_dscnt 0x0
	s_wait_kmcnt 0x0
	s_barrier_signal -1
	s_barrier_wait -1
	global_inv scope:SCOPE_SE
                                        ; implicit-def: $vgpr1
                                        ; implicit-def: $vgpr3
                                        ; implicit-def: $vgpr5
                                        ; implicit-def: $vgpr7
                                        ; implicit-def: $vgpr9
                                        ; implicit-def: $vgpr11
                                        ; implicit-def: $vgpr13
                                        ; implicit-def: $vgpr106
                                        ; implicit-def: $vgpr16
	s_and_saveexec_b32 s0, vcc_lo
	s_cbranch_execz .LBB0_5
; %bb.4:
	v_lshl_add_u32 v0, v49, 2, v52
	s_delay_alu instid0(VALU_DEP_1)
	v_add_nc_u32_e32 v1, 0x200, v0
	v_add_nc_u32_e32 v2, 0x400, v0
	ds_load_2addr_b32 v[16:17], v0 offset0:32 offset1:64
	ds_load_2addr_b32 v[12:13], v0 offset0:96 offset1:128
	;; [unrolled: 1-line block ×3, first 2 shown]
	v_add_nc_u32_e32 v0, 0x600, v0
	ds_load_2addr_b32 v[8:9], v1 offset0:96 offset1:128
	ds_load_2addr_b32 v[6:7], v2 offset0:32 offset1:64
	;; [unrolled: 1-line block ×5, first 2 shown]
	ds_load_b32 v25, v50
	s_wait_dscnt 0x8
	v_alignbit_b32 v106, v17, v17, 16
.LBB0_5:
	s_wait_alu 0xfffe
	s_or_b32 exec_lo, exec_lo, s0
	s_wait_dscnt 0x1
	v_pk_add_f16 v18, v16, v1 neg_lo:[0,1] neg_hi:[0,1]
	v_pk_add_f16 v24, v106, v0 op_sel:[1,0] op_sel_hi:[0,1] neg_lo:[0,1] neg_hi:[0,1]
	v_pk_add_f16 v23, v1, v16
	v_pk_add_f16 v19, v0, v106 op_sel:[1,0] op_sel_hi:[0,1]
	v_pk_add_f16 v20, v12, v3 neg_lo:[0,1] neg_hi:[0,1]
	v_lshrrev_b32_e32 v98, 16, v18
	v_lshrrev_b32_e32 v99, 16, v24
	;; [unrolled: 1-line block ×3, first 2 shown]
	v_mul_f16_e32 v71, 0xb5c8, v18
	v_lshrrev_b32_e32 v73, 16, v19
	v_mul_f16_e32 v60, 0xb5c8, v98
	v_mul_f16_e32 v58, 0xb964, v99
	v_lshrrev_b32_e32 v100, 16, v20
	s_wait_dscnt 0x0
	v_lshrrev_b32_e32 v62, 16, v25
	v_pk_add_f16 v22, v3, v12
	v_fmamk_f16 v17, v23, 0x3b76, v60
	v_mul_f16_e32 v68, 0xb964, v24
	v_fma_f16 v26, v76, 0x3b76, -v71
	v_fmamk_f16 v27, v73, 0x39e9, v58
	v_mul_f16_e32 v57, 0xbb29, v100
	v_add_f16_e32 v17, v17, v25
	v_pk_add_f16 v21, v13, v2 neg_lo:[0,1] neg_hi:[0,1]
	v_fma_f16 v28, v19, 0x39e9, -v68
	v_add_f16_e32 v26, v26, v62
	v_lshrrev_b32_e32 v77, 16, v22
	v_add_f16_e32 v17, v27, v17
	v_fmamk_f16 v29, v22, 0x3722, v57
	v_mul_f16_e32 v69, 0xbb29, v20
	v_add_f16_e32 v28, v28, v26
	v_lshrrev_b32_e32 v101, 16, v21
	v_pk_add_f16 v27, v2, v13
	v_add_f16_e32 v17, v29, v17
	v_fma_f16 v29, v77, 0x3722, -v69
	v_pk_add_f16 v26, v10, v5 neg_lo:[0,1] neg_hi:[0,1]
	v_mul_f16_e32 v59, 0xbbf7, v101
	v_lshrrev_b32_e32 v79, 16, v27
	v_mul_f16_e32 v72, 0xbbf7, v21
	v_add_f16_e32 v30, v29, v28
	v_lshrrev_b32_e32 v102, 16, v26
	v_pk_add_f16 v29, v5, v10
	v_pk_add_f16 v28, v11, v4 neg_lo:[0,1] neg_hi:[0,1]
	v_fmamk_f16 v31, v27, 0x2de8, v59
	v_fma_f16 v51, v79, 0x2de8, -v72
	v_mul_f16_e32 v61, 0xbbb2, v102
	v_lshrrev_b32_e32 v80, 16, v29
	v_mul_f16_e32 v74, 0xbbb2, v26
	v_lshrrev_b32_e32 v104, 16, v28
	v_add_f16_e32 v17, v31, v17
	v_add_f16_e32 v30, v51, v30
	v_fmamk_f16 v31, v29, 0xb461, v61
	v_fma_f16 v53, v80, 0xb461, -v74
	v_pk_add_f16 v51, v4, v11
	v_mul_f16_e32 v63, 0xba62, v104
	v_mul_f16_e32 v75, 0xba62, v28
	v_add_f16_e32 v17, v31, v17
	v_pk_add_f16 v31, v8, v7 neg_lo:[0,1] neg_hi:[0,1]
	v_add_f16_e32 v53, v53, v30
	v_fmamk_f16 v30, v51, 0xb8d2, v63
	v_lshrrev_b32_e32 v81, 16, v51
	v_pk_add_f16 v55, v7, v8
	v_lshrrev_b32_e32 v105, 16, v31
	v_mul_f16_e32 v70, 0xb836, v31
	v_add_f16_e32 v17, v30, v17
	v_pk_add_f16 v30, v9, v6 neg_lo:[0,1] neg_hi:[0,1]
	v_fma_f16 v54, v81, 0xb8d2, -v75
	v_mul_f16_e32 v64, 0xb836, v105
	v_lshrrev_b32_e32 v82, 16, v55
	v_pk_add_f16 v56, v6, v9
	v_lshrrev_b32_e32 v103, 16, v30
	v_add_f16_e32 v53, v54, v53
	v_fmamk_f16 v54, v55, 0xbacd, v64
	v_fma_f16 v66, v82, 0xbacd, -v70
	v_lshrrev_b32_e32 v78, 16, v56
	v_mul_f16_e32 v65, 0xb1e1, v103
	v_mul_f16_e32 v67, 0xb1e1, v30
	v_add_f16_e32 v17, v54, v17
	v_add_f16_e32 v53, v66, v53
	global_wb scope:SCOPE_SE
	v_fmamk_f16 v54, v56, 0xbbdd, v65
	v_fma_f16 v66, v78, 0xbbdd, -v67
	s_barrier_signal -1
	s_barrier_wait -1
	global_inv scope:SCOPE_SE
	v_add_f16_e32 v17, v54, v17
	v_add_f16_e32 v54, v66, v53
	v_mul_lo_u16 v53, v49, 17
	s_and_saveexec_b32 s0, vcc_lo
	s_cbranch_execz .LBB0_7
; %bb.6:
	v_mul_f16_e32 v84, 0xb964, v98
	v_mul_f16_e32 v85, 0xbbf7, v99
	;; [unrolled: 1-line block ×5, first 2 shown]
	v_fmamk_f16 v83, v23, 0x39e9, v84
	v_fmamk_f16 v89, v73, 0x2de8, v85
	;; [unrolled: 1-line block ×3, first 2 shown]
	v_mul_f16_e32 v86, 0xb1e1, v101
	v_mul_f16_e32 v94, 0xbbdd, v77
	v_add_f16_e32 v83, v83, v25
	v_fmamk_f16 v90, v24, 0x3a62, v93
	v_add_f16_e32 v87, v87, v62
	v_fmamk_f16 v91, v22, 0xb8d2, v88
	v_mul_f16_e32 v95, 0xb461, v79
	v_add_f16_e32 v83, v89, v83
	v_fmamk_f16 v89, v20, 0xb1e1, v94
	v_add_f16_e32 v87, v90, v87
	v_fmamk_f16 v96, v27, 0xbbdd, v86
	v_mul_f16_e32 v90, 0x3836, v102
	v_add_f16_e32 v83, v91, v83
	v_fmamk_f16 v91, v21, 0xbbb2, v95
	v_add_f16_e32 v87, v89, v87
	v_mul_f16_e32 v97, 0x39e9, v80
	v_fmamk_f16 v107, v29, 0xbacd, v90
	v_add_f16_e32 v83, v96, v83
	v_mul_f16_e32 v89, 0x3bb2, v104
	v_add_f16_e32 v91, v91, v87
	v_fmamk_f16 v108, v26, 0xb964, v97
	v_mul_f16_e32 v96, 0x3b76, v81
	v_add_f16_e32 v83, v107, v83
	v_fmamk_f16 v107, v51, 0xb461, v89
	v_mul_f16_e32 v87, 0x3b29, v105
	v_alignbit_b32 v66, v25, v25, 16
	v_add_f16_e32 v108, v108, v91
	v_fmamk_f16 v109, v28, 0x35c8, v96
	v_mul_f16_e32 v91, 0x2de8, v82
	v_add_f16_e32 v110, v107, v83
	v_fmamk_f16 v111, v55, 0x3722, v87
	v_mul_f16_e32 v83, 0x35c8, v103
	v_mul_f16_e32 v112, 0x2de8, v76
	v_add_f16_e32 v108, v109, v108
	v_fmamk_f16 v109, v31, 0x3bf7, v91
	v_pk_add_f16 v16, v16, v66 op_sel:[0,1] op_sel_hi:[1,0]
	v_mul_f16_e32 v107, 0xbacd, v78
	v_alignbit_b32 v106, v106, v106, 16
	v_add_f16_e32 v110, v111, v110
	v_fmamk_f16 v111, v56, 0x3b76, v83
	v_fmamk_f16 v113, v18, 0x3bf7, v112
	v_mul_f16_e32 v114, 0xbbdd, v19
	v_add_f16_e32 v108, v109, v108
	v_fmamk_f16 v109, v30, 0x3836, v107
	v_pk_add_f16 v106, v106, v16
	v_add_f16_e32 v113, v113, v62
	v_fmamk_f16 v115, v24, 0x31e1, v114
	v_mul_f16_e32 v116, 0xb461, v77
	v_add_f16_e32 v16, v111, v110
	v_mul_f16_e32 v110, 0xbbf7, v98
	v_pk_add_f16 v106, v12, v106
	v_add_f16_e32 v111, v115, v113
	v_fmamk_f16 v113, v20, 0xbbb2, v116
	v_add_f16_e32 v12, v109, v108
	v_fmamk_f16 v108, v23, 0x2de8, v110
	v_mul_f16_e32 v109, 0xb1e1, v99
	v_pk_add_f16 v13, v13, v106
	v_add_f16_e32 v106, v113, v111
	v_mul_f16_e32 v115, 0x3bb2, v100
	v_add_f16_e32 v108, v108, v25
	v_fmamk_f16 v113, v73, 0xbbdd, v109
	v_mul_f16_e32 v111, 0x3b76, v79
	v_pk_add_f16 v10, v10, v13
	v_mul_f16_e32 v118, 0x35c8, v101
	v_mul_f16_e32 v117, 0x3722, v80
	v_add_f16_e32 v108, v113, v108
	v_fmamk_f16 v113, v22, 0xb461, v115
	v_fmamk_f16 v13, v21, 0xb5c8, v111
	v_pk_add_f16 v10, v11, v10
	v_mul_f16_e32 v119, 0xbacd, v81
	v_mul_f16_e32 v120, 0xb461, v76
	v_add_f16_e32 v11, v113, v108
	v_fmamk_f16 v108, v27, 0x3b76, v118
	v_mul_f16_e32 v113, 0xbb29, v102
	v_add_f16_e32 v13, v13, v106
	v_fmamk_f16 v106, v26, 0x3b29, v117
	v_pk_add_f16 v8, v8, v10
	v_add_f16_e32 v10, v108, v11
	v_fmamk_f16 v11, v29, 0x3722, v113
	v_mul_f16_e32 v108, 0xb836, v104
	v_add_f16_e32 v106, v106, v13
	v_pk_add_f16 v13, v9, v8
	v_fmamk_f16 v8, v28, 0x3836, v119
	v_add_f16_e32 v9, v11, v10
	v_fmamk_f16 v10, v51, 0xbacd, v108
	v_mul_f16_e32 v121, 0x3a62, v105
	v_fmamk_f16 v11, v18, 0x3bb2, v120
	v_mul_f16_e32 v122, 0xbacd, v19
	v_add_f16_e32 v8, v8, v106
	v_add_f16_e32 v9, v10, v9
	v_fmamk_f16 v10, v55, 0xb8d2, v121
	v_mul_f16_e32 v123, 0x3964, v103
	v_add_f16_e32 v11, v11, v62
	v_fmamk_f16 v106, v24, 0xb836, v122
	v_mul_f16_e32 v124, 0x39e9, v77
	;; [unrolled: 3-line block ×5, first 2 shown]
	v_add_f16_e32 v11, v106, v11
	v_fmamk_f16 v106, v21, 0x3b29, v126
	v_mul_f16_e64 v128, 0xbbdd, v80
	v_add_f16_e32 v10, v10, v25
	v_fma_f16 v129, 0xbacd, v73, v127
	v_mul_f16_e64 v130, 0x3964, v100
	v_add_f16_e32 v11, v106, v11
	v_fma_f16 v106, 0x31e1, v26, v128
	v_mul_f16_e64 v131, 0x2de8, v81
	v_add_f16_e64 v10, v129, v10
	v_fma_f16 v129, 0x39e9, v22, v130
	v_mul_f16_e64 v132, 0xbb29, v101
	v_add_f16_e32 v11, v106, v11
	v_fma_f16 v106, 0xbbf7, v28, v131
	v_mul_f16_e64 v133, 0x3b76, v82
	v_add_f16_e64 v10, v129, v10
	;; [unrolled: 6-line block ×6, first 2 shown]
	v_fma_f16 v129, 0xb8d2, v56, v138
	v_mul_f16_e64 v143, 0xba62, v98
	v_add_f16_e64 v141, v141, v11
	v_fma_f16 v144, 0x35c8, v20, v142
	v_mul_f16_e64 v145, 0xbacd, v79
	v_add_f16_e64 v11, v129, v106
	v_fma_f16 v106, 0xb8d2, v23, v143
	v_mul_f16_e64 v129, 0x3bb2, v99
	v_add_f16_e64 v141, v144, v141
	v_fma_f16 v144, 0x3836, v21, v145
	v_mul_f16_e64 v146, 0x2de8, v80
	v_add_f16_e32 v106, v106, v25
	v_fma_f16 v147, 0xb461, v73, v129
	v_mul_f16_e64 v148, 0xb5c8, v100
	v_add_f16_e64 v141, v144, v141
	v_fma_f16 v144, 0xbbf7, v26, v146
	v_mul_f16_e64 v149, 0x39e9, v81
	v_add_f16_e64 v106, v147, v106
	;; [unrolled: 3-line block ×15, first 2 shown]
	v_mul_f16_e64 v159, 0x3b76, v80
	v_mul_f16_e64 v165, 0x39e9, v82
	;; [unrolled: 1-line block ×3, first 2 shown]
	v_fmac_f16_e64 v155, 0xb836, v18
	v_add_f16_e64 v141, v156, v141
	v_fma_f16 v156, 0x35c8, v26, v159
	v_fma_f16 v147, 0xbacd, v23, v161
	v_mul_f16_e32 v99, 0x3b29, v99
	v_add_f16_e64 v155, v155, v62
	v_fmac_f16_e64 v144, 0x3b29, v24
	v_add_f16_e64 v141, v156, v141
	v_fma_f16 v156, 0x31e1, v28, v164
	v_fmac_f16_e32 v112, 0xbbf7, v18
	v_add_f16_e64 v147, v147, v25
	v_fma_f16 v163, 0x3722, v73, v99
	v_mul_f16_e32 v100, 0xbbf7, v100
	v_add_f16_e64 v141, v156, v141
	v_fma_f16 v156, 0xb964, v31, v165
	v_add_f16_e64 v144, v144, v155
	v_fma_f16 v99, v73, 0x3722, -v99
	v_add_f16_e32 v112, v112, v62
	v_fmac_f16_e32 v114, 0xb1e1, v24
	v_add_f16_e64 v141, v156, v141
	v_fma_f16 v156, 0x3bb2, v30, v166
	v_fma_f16 v110, v23, 0x2de8, -v110
	v_add_f16_e64 v147, v163, v147
	v_fma_f16 v163, 0x2de8, v22, v100
	v_mul_f16_e32 v101, 0x3a62, v101
	v_add_f16_e64 v141, v156, v141
	v_fma_f16 v156, v23, 0xbacd, -v161
	v_fma_f16 v100, v22, 0x2de8, -v100
	v_fmac_f16_e64 v137, 0xba62, v18
	v_add_f16_e32 v112, v114, v112
	v_fmac_f16_e32 v116, 0x3bb2, v20
	v_add_f16_e64 v155, v156, v25
	v_add_f16_e32 v110, v110, v25
	v_fma_f16 v109, v73, 0xbbdd, -v109
	v_add_f16_e64 v147, v163, v147
	v_fma_f16 v163, 0xb8d2, v27, v101
	v_add_f16_e64 v99, v99, v155
	v_mul_f16_e32 v102, 0xb5c8, v102
	v_fmac_f16_e64 v140, 0x3bb2, v24
	v_add_f16_e32 v112, v116, v112
	v_fmac_f16_e32 v111, 0x35c8, v21
	v_add_f16_e32 v99, v100, v99
	v_fma_f16 v100, v27, 0xb8d2, -v101
	v_add_f16_e64 v101, v137, v62
	v_add_f16_e32 v109, v109, v110
	v_fma_f16 v110, v22, 0xb461, -v115
	v_fmac_f16_e32 v92, 0xbb29, v18
	v_mul_f16_e32 v104, 0xb1e1, v104
	v_add_f16_e32 v99, v100, v99
	v_fma_f16 v100, v29, 0x3b76, -v102
	v_add_f16_e64 v101, v140, v101
	v_fmac_f16_e64 v142, 0xb5c8, v20
	v_add_f16_e32 v111, v111, v112
	v_fmac_f16_e32 v117, 0xbb29, v26
	v_add_f16_e32 v109, v110, v109
	v_fma_f16 v110, v27, 0x3b76, -v118
	v_add_f16_e32 v92, v92, v62
	v_fmac_f16_e32 v93, 0xba62, v24
	v_mul_f16_e32 v105, 0x3964, v105
	v_add_f16_e32 v99, v100, v99
	v_fma_f16 v100, v51, 0xbbdd, -v104
	v_add_f16_e64 v101, v142, v101
	v_fmac_f16_e64 v145, 0xb836, v21
	v_add_f16_e32 v111, v117, v111
	v_fmac_f16_e32 v119, 0xb836, v28
	v_add_f16_e32 v109, v110, v109
	v_fma_f16 v110, v29, 0x3722, -v113
	v_add_f16_e32 v92, v93, v92
	v_fmac_f16_e32 v94, 0x31e1, v20
	v_fma_f16 v161, 0x39e9, v55, v105
	v_add_f16_e32 v99, v100, v99
	v_fma_f16 v100, v55, 0x39e9, -v105
	v_add_f16_e64 v101, v145, v101
	v_fmac_f16_e64 v146, 0x3bf7, v26
	v_fma_f16 v105, v23, 0xb8d2, -v143
	v_add_f16_e32 v93, v119, v111
	v_mul_f16_e32 v111, 0xb8d2, v82
	v_add_f16_e32 v109, v110, v109
	v_fma_f16 v108, v51, 0xbacd, -v108
	v_add_f16_e32 v92, v94, v92
	v_fmac_f16_e32 v95, 0x3bb2, v21
	v_add_f16_e32 v99, v100, v99
	v_add_f16_e64 v100, v146, v101
	v_add_f16_e32 v101, v105, v25
	v_fma_f16 v105, v73, 0xb461, -v129
	v_fmac_f16_e32 v120, 0xbbb2, v18
	v_fmamk_f16 v94, v31, 0xba62, v111
	v_fmac_f16_e32 v111, 0x3a62, v31
	v_add_f16_e32 v108, v108, v109
	v_fma_f16 v109, v55, 0xb8d2, -v121
	v_add_f16_e32 v92, v95, v92
	v_mul_f16_e32 v95, 0x39e9, v78
	v_fmac_f16_e32 v97, 0x3964, v26
	v_add_f16_e32 v101, v105, v101
	v_fma_f16 v105, v22, 0x3b76, -v148
	v_add_f16_e32 v120, v120, v62
	v_fmac_f16_e32 v122, 0x3836, v24
	v_add_f16_e32 v93, v111, v93
	v_add_f16_e32 v108, v109, v108
	v_fmamk_f16 v109, v30, 0x3964, v95
	v_add_f16_e32 v92, v97, v92
	v_mul_f16_e32 v97, 0x3b76, v23
	v_fma_f16 v110, v56, 0x39e9, -v123
	v_mul_f16_e32 v76, 0x3b76, v76
	v_fma_f16 v84, v23, 0x39e9, -v84
	v_add_f16_e32 v101, v105, v101
	v_add_f16_e32 v105, v122, v120
	v_fma_f16 v120, v23, 0xb461, -v125
	v_fma_f16 v122, v73, 0xbacd, -v127
	v_fmac_f16_e32 v96, 0xb5c8, v28
	v_add_f16_e32 v93, v109, v93
	v_mul_f16_e32 v109, 0x39e9, v73
	v_add_f16_e32 v108, v110, v108
	v_mul_f16_e32 v110, 0x39e9, v19
	v_fma_f16 v73, v73, 0x2de8, -v85
	v_add_f16_e32 v84, v84, v25
	v_add_f16_e32 v71, v71, v76
	v_sub_f16_e32 v60, v97, v60
	v_add_f16_e32 v120, v120, v25
	v_add_f16_e32 v92, v96, v92
	v_mul_f16_e32 v96, 0x3722, v22
	v_mul_f16_e32 v77, 0x3722, v77
	v_add_f16_e32 v73, v73, v84
	v_fma_f16 v84, v22, 0xb8d2, -v88
	v_pk_mul_f16 v76, 0x39e93722, v23
	v_add_f16_e32 v62, v71, v62
	v_add_f16_e32 v68, v68, v110
	;; [unrolled: 1-line block ×3, first 2 shown]
	v_sub_f16_e32 v58, v109, v58
	v_pk_add_f16 v6, v6, v13
	v_fmac_f16_e32 v91, 0xbbf7, v31
	v_mul_f16_e32 v85, 0x2de8, v27
	v_mul_f16_e32 v79, 0x2de8, v79
	v_add_f16_e32 v73, v84, v73
	v_fma_f16 v86, v27, 0xbbdd, -v86
	v_pk_fma_f16 v71, 0xbb29b964, v18, v76 op_sel:[0,0,1] op_sel_hi:[1,1,0] neg_lo:[0,1,0] neg_hi:[0,1,0]
	v_pk_mul_f16 v110, 0xba62bbf7, v24
	v_add_f16_e32 v62, v68, v62
	v_add_f16_e32 v69, v69, v77
	v_pk_fma_f16 v76, 0xbb29b964, v18, v76 op_sel:[0,0,1] op_sel_hi:[1,1,0]
	v_add_f16_e32 v25, v58, v25
	v_sub_f16_e32 v13, v96, v57
	v_pk_add_f16 v6, v7, v6
	v_add_f16_e32 v91, v91, v92
	v_mul_f16_e32 v92, 0xb461, v29
	v_mul_f16_e32 v80, 0xb461, v80
	v_add_f16_e32 v73, v86, v73
	v_pk_mul_f16 v86, 0xb8d2bbdd, v22
	v_pk_fma_f16 v68, 0xb8d22de8, v19, v110 neg_lo:[0,0,1] neg_hi:[0,0,1]
	v_fma_f16 v90, v29, 0xbacd, -v90
	v_add_f16_e32 v62, v69, v62
	v_add_f16_e32 v72, v72, v79
	v_pk_fma_f16 v110, 0xb8d22de8, v19, v110
	v_bfi_b32 v7, 0xffff, v76, v71
	v_add_f16_e32 v13, v13, v25
	v_sub_f16_e32 v25, v85, v59
	v_pk_add_f16 v4, v4, v6
	v_mul_f16_e32 v88, 0xb8d2, v51
	v_mul_f16_e32 v81, 0xb8d2, v81
	v_pk_fma_f16 v77, 0x31e1ba62, v20, v86 op_sel:[0,0,1] op_sel_hi:[1,1,0] neg_lo:[0,1,0] neg_hi:[0,1,0]
	v_add_f16_e32 v73, v90, v73
	v_pk_mul_f16 v90, 0xbbddb461, v27
	v_add_f16_e32 v62, v72, v62
	v_add_f16_e32 v74, v74, v80
	v_pk_fma_f16 v86, 0x31e1ba62, v20, v86 op_sel:[0,0,1] op_sel_hi:[1,1,0]
	v_pk_add_f16 v6, v7, v66
	v_bfi_b32 v7, 0xffff, v110, v68
	v_add_f16_e32 v13, v25, v13
	v_sub_f16_e32 v25, v92, v61
	v_pk_add_f16 v4, v5, v4
	v_mul_f16_e32 v84, 0xbacd, v55
	v_mul_f16_e32 v82, 0xbacd, v82
	v_pk_mul_f16 v69, 0xbacd39e9, v29
	v_fma_f16 v89, v51, 0xb461, -v89
	v_pk_fma_f16 v79, 0x3bb2b1e1, v21, v90 op_sel:[0,0,1] op_sel_hi:[1,1,0] neg_lo:[0,1,0] neg_hi:[0,1,0]
	v_add_f16_e32 v62, v74, v62
	v_pk_fma_f16 v90, 0x3bb2b1e1, v21, v90 op_sel:[0,0,1] op_sel_hi:[1,1,0]
	v_add_f16_e32 v75, v75, v81
	v_pk_add_f16 v5, v7, v6
	v_bfi_b32 v6, 0xffff, v86, v77
	v_add_f16_e32 v7, v25, v13
	v_sub_f16_e32 v13, v88, v63
	v_pk_add_f16 v2, v2, v4
	v_add_f16_e32 v73, v89, v73
	v_pk_fma_f16 v89, 0x39643836, v26, v69 op_sel:[0,0,1] op_sel_hi:[1,1,0] neg_lo:[0,1,0] neg_hi:[0,1,0]
	v_fma_f16 v87, v55, 0x3722, -v87
	v_pk_mul_f16 v80, 0xb4613b76, v51
	v_pk_fma_f16 v69, 0x39643836, v26, v69 op_sel:[0,0,1] op_sel_hi:[1,1,0]
	v_mul_f16_e32 v60, 0xbbdd, v56
	v_mul_f16_e32 v78, 0xbbdd, v78
	v_add_f16_e32 v62, v75, v62
	v_add_f16_e32 v59, v70, v82
	v_pk_add_f16 v4, v6, v5
	v_bfi_b32 v5, 0xffff, v90, v79
	v_add_f16_e32 v6, v13, v7
	v_sub_f16_e32 v7, v84, v64
	v_pk_add_f16 v2, v3, v2
	v_mul_f16_e32 v103, 0xbbb2, v103
	v_add_f16_e32 v73, v87, v73
	v_pk_fma_f16 v87, 0xb5c83bb2, v28, v80 op_sel:[0,0,1] op_sel_hi:[1,1,0] neg_lo:[0,1,0] neg_hi:[0,1,0]
	v_pk_mul_f16 v74, 0x37222de8, v55
	v_pk_fma_f16 v80, 0xb5c83bb2, v28, v80 op_sel:[0,0,1] op_sel_hi:[1,1,0]
	v_add_f16_e32 v59, v59, v62
	v_add_f16_e32 v25, v67, v78
	v_pk_add_f16 v3, v5, v4
	v_bfi_b32 v4, 0xffff, v69, v89
	v_add_f16_e32 v5, v7, v6
	v_sub_f16_e32 v6, v60, v65
	v_pk_add_f16 v0, v0, v2
	v_fma_f16 v155, 0xb461, v56, v103
	v_fma_f16 v103, v56, 0xb461, -v103
	v_pk_fma_f16 v81, 0xbbf73b29, v31, v74 op_sel:[0,0,1] op_sel_hi:[1,1,0] neg_lo:[0,1,0] neg_hi:[0,1,0]
	v_pk_mul_f16 v97, 0x3b76bacd, v56
	v_pk_fma_f16 v74, 0xbbf73b29, v31, v74 op_sel:[0,0,1] op_sel_hi:[1,1,0]
	v_add_f16_e32 v13, v25, v59
	v_and_b32_e32 v7, 0xffff, v53
	v_pk_add_f16 v2, v4, v3
	v_bfi_b32 v3, 0xffff, v80, v87
	v_add_f16_e32 v4, v6, v5
	v_pk_add_f16 v0, v1, v0
	v_pk_mul_f16 v1, 0xbbdd, v23 op_sel_hi:[0,1]
	v_add_f16_e32 v99, v103, v99
	v_fma_f16 v103, v27, 0xbacd, -v150
	v_fmac_f16_e32 v124, 0x3964, v20
	v_pk_add_f16 v72, v76, v66
	v_pk_fma_f16 v109, 0xb83635c8, v30, v97 op_sel:[0,0,1] op_sel_hi:[1,1,0] neg_lo:[0,1,0] neg_hi:[0,1,0]
	v_add_lshl_u32 v5, v14, v7, 2
	v_pk_add_f16 v2, v3, v2
	v_bfi_b32 v3, 0xffff, v74, v81
	v_pack_b32_f16 v4, v4, v13
	v_pk_fma_f16 v6, 0xb83635c8, v30, v97 op_sel:[0,0,1] op_sel_hi:[1,1,0]
	v_pk_fma_f16 v7, 0xb1e1, v18, v1 op_sel:[0,0,1] op_sel_hi:[0,1,0] neg_lo:[0,1,0] neg_hi:[0,1,0]
	v_pk_mul_f16 v13, 0x35c8, v24 op_sel_hi:[0,1]
	v_pk_fma_f16 v1, 0xb1e1, v18, v1 op_sel:[0,0,1] op_sel_hi:[0,1,0]
	v_add_f16_e32 v101, v103, v101
	v_fma_f16 v103, v29, 0x2de8, -v152
	v_add_f16_e32 v105, v124, v105
	v_fmac_f16_e32 v126, 0xbb29, v21
	v_pk_add_f16 v72, v110, v72
	v_pk_add_f16 v2, v3, v2
	v_bfi_b32 v3, 0xffff, v6, v109
	v_pk_add_f16 v6, v7, v66
	v_pk_fma_f16 v7, 0x3b76, v19, v13 op_sel_hi:[0,1,1] neg_lo:[0,0,1] neg_hi:[0,0,1]
	v_pk_mul_f16 v18, 0xbacd, v22 op_sel_hi:[0,1]
	v_pk_add_f16 v1, v1, v66
	v_pk_fma_f16 v13, 0x3b76, v19, v13 op_sel_hi:[0,1,1]
	v_fmac_f16_e32 v107, 0xb836, v30
	v_add_f16_e32 v101, v103, v101
	v_fma_f16 v103, v51, 0x39e9, -v154
	v_add_f16_e32 v105, v126, v105
	v_fmac_f16_e64 v128, 0xb1e1, v26
	v_add_f16_e32 v120, v122, v120
	v_fma_f16 v122, v22, 0x39e9, -v130
	v_fmac_f16_e64 v160, 0xbbf7, v20
	v_pk_add_f16 v72, v86, v72
	v_pk_add_f16 v2, v3, v2
	;; [unrolled: 1-line block ×3, first 2 shown]
	v_pk_fma_f16 v6, 0xb836, v20, v18 op_sel:[0,0,1] op_sel_hi:[0,1,0] neg_lo:[0,1,0] neg_hi:[0,1,0]
	v_pk_mul_f16 v7, 0x39e9, v27 op_sel_hi:[0,1]
	v_pk_add_f16 v1, v13, v1
	v_pk_fma_f16 v13, 0xb836, v20, v18 op_sel:[0,0,1] op_sel_hi:[0,1,0]
	v_add_f16_e32 v91, v107, v91
	v_add_f16_e32 v107, v71, v66
	;; [unrolled: 1-line block ×3, first 2 shown]
	v_fma_f16 v103, v55, 0xbbdd, -v157
	v_add_f16_e64 v105, v128, v105
	v_fmac_f16_e64 v131, 0x3bf7, v28
	v_add_f16_e32 v120, v122, v120
	v_fma_f16 v122, v27, 0x3722, -v132
	v_add_f16_e64 v144, v160, v144
	v_fmac_f16_e64 v162, 0x3a62, v21
	v_pk_add_f16 v72, v90, v72
	v_pk_add_f16 v3, v6, v3
	v_pk_fma_f16 v6, 0x3964, v21, v7 op_sel:[0,0,1] op_sel_hi:[0,1,0] neg_lo:[0,1,0] neg_hi:[0,1,0]
	v_pk_mul_f16 v19, 0xb8d2, v29 op_sel_hi:[0,1]
	v_pk_add_f16 v1, v13, v1
	v_pk_fma_f16 v7, 0x3964, v21, v7 op_sel:[0,0,1] op_sel_hi:[0,1,0]
	v_add_f16_e32 v107, v68, v107
	v_add_f16_e32 v101, v103, v101
	v_fma_f16 v103, v56, 0x3722, -v158
	v_add_f16_e64 v105, v131, v105
	v_fmac_f16_e64 v133, 0xb5c8, v31
	v_add_f16_e32 v120, v122, v120
	v_fma_f16 v122, v29, 0xbbdd, -v134
	v_add_f16_e64 v144, v162, v144
	v_fmac_f16_e64 v159, 0xb5c8, v26
	v_pk_add_f16 v72, v69, v72
	v_pk_add_f16 v3, v6, v3
	v_pk_fma_f16 v6, 0xba62, v26, v19 op_sel:[0,0,1] op_sel_hi:[0,1,0] neg_lo:[0,1,0] neg_hi:[0,1,0]
	v_pk_mul_f16 v13, 0x3722, v51 op_sel_hi:[0,1]
	v_pk_add_f16 v1, v7, v1
	v_pk_fma_f16 v7, 0xba62, v26, v19 op_sel:[0,0,1] op_sel_hi:[0,1,0]
	v_add_f16_e32 v107, v77, v107
	v_add_f16_e32 v101, v103, v101
	v_add_f16_e64 v103, v133, v105
	v_add_f16_e32 v105, v122, v120
	v_fma_f16 v120, v51, 0x2de8, -v136
	v_add_f16_e64 v147, v163, v147
	v_fma_f16 v163, 0x3b76, v29, v102
	v_add_f16_e64 v137, v159, v144
	v_fmac_f16_e64 v164, 0xb1e1, v28
	v_fmac_f16_e64 v149, 0xb964, v28
	v_pk_add_f16 v72, v80, v72
	v_mul_f16_e32 v57, 0x3964, v30
	v_pk_add_f16 v3, v6, v3
	v_pk_fma_f16 v6, 0x3b29, v28, v13 op_sel:[0,0,1] op_sel_hi:[0,1,0] neg_lo:[0,1,0] neg_hi:[0,1,0]
	v_pk_mul_f16 v20, 0xb461, v55 op_sel_hi:[0,1]
	v_pk_add_f16 v1, v7, v1
	v_pk_fma_f16 v7, 0x3b29, v28, v13 op_sel:[0,0,1] op_sel_hi:[0,1,0]
	v_add_f16_e32 v107, v79, v107
	v_add_f16_e32 v105, v120, v105
	v_fma_f16 v120, v55, 0x3b76, -v139
	v_add_f16_e64 v147, v163, v147
	v_fma_f16 v163, 0xbbdd, v51, v104
	v_add_f16_e64 v102, v164, v137
	v_fmac_f16_e64 v165, 0x3964, v31
	v_add_f16_e64 v100, v149, v100
	v_fmac_f16_e64 v151, 0xb1e1, v31
	v_pk_mul_f16 v58, 0xb83635c8, v30
	v_pk_add_f16 v3, v6, v3
	v_pk_fma_f16 v6, 0xbbb2, v31, v20 op_sel:[0,0,1] op_sel_hi:[0,1,0] neg_lo:[0,1,0] neg_hi:[0,1,0]
	v_pk_mul_f16 v21, 0x2de8, v56 op_sel_hi:[0,1]
	v_pk_add_f16 v1, v7, v1
	v_pk_fma_f16 v7, 0xbbb2, v31, v20 op_sel:[0,0,1] op_sel_hi:[0,1,0]
	v_bfi_b32 v22, 0xffff, v57, v72
	v_add_f16_e32 v107, v89, v107
	v_fma_f16 v83, v56, 0x3b76, -v83
	v_fmac_f16_e64 v135, 0xba62, v30
	v_add_f16_e32 v105, v120, v105
	v_fma_f16 v114, v56, 0xb8d2, -v138
	v_add_f16_e64 v147, v163, v147
	v_add_f16_e64 v102, v165, v102
	v_fmac_f16_e64 v166, 0xbbb2, v30
	v_add_f16_e64 v100, v151, v100
	v_fmac_f16_e64 v153, 0x3b29, v30
	v_pk_add_f16 v3, v6, v3
	v_pk_fma_f16 v6, 0x3bf7, v30, v21 op_sel:[0,0,1] op_sel_hi:[0,1,0] neg_lo:[0,1,0] neg_hi:[0,1,0]
	v_pk_add_f16 v1, v7, v1
	v_pk_fma_f16 v7, 0x3bf7, v30, v21 op_sel:[0,0,1] op_sel_hi:[0,1,0]
	v_pack_b32_f16 v21, v94, v97
	v_bfi_b32 v8, 0xffff, v8, v58
	v_pk_add_f16 v22, v95, v22 neg_lo:[0,1] neg_hi:[0,1]
	v_pk_add_f16 v23, v74, v72
	v_add_f16_e32 v107, v87, v107
	v_add_f16_e32 v73, v83, v73
	v_add_f16_e64 v103, v135, v103
	v_add_f16_e32 v105, v114, v105
	v_add_f16_e64 v147, v161, v147
	v_add_f16_e64 v102, v166, v102
	;; [unrolled: 1-line block ×3, first 2 shown]
	v_pk_add_f16 v3, v6, v3
	v_pk_add_f16 v1, v7, v1
	;; [unrolled: 1-line block ×3, first 2 shown]
	v_bfi_b32 v7, 0xffff, v22, v23
	v_add_f16_e32 v107, v81, v107
	v_alignbit_b32 v18, v91, v2, 16
	v_pack_b32_f16 v2, v73, v2
	v_pack_b32_f16 v19, v105, v103
	;; [unrolled: 1-line block ×3, first 2 shown]
	v_add_f16_e64 v104, v155, v147
	v_pack_b32_f16 v20, v99, v102
	v_pack_b32_f16 v24, v101, v100
	ds_store_2addr_b32 v5, v0, v4 offset1:1
	ds_store_2addr_b32 v5, v2, v18 offset0:2 offset1:3
	ds_store_2addr_b32 v5, v13, v19 offset0:4 offset1:5
	;; [unrolled: 1-line block ×3, first 2 shown]
	v_pk_add_f16 v2, v7, v6
	v_add_f16_e32 v107, v109, v107
	v_alignbit_b32 v0, v3, v1, 16
	v_alignbit_b32 v1, v1, v3, 16
	v_pack_b32_f16 v3, v98, v106
	v_pack_b32_f16 v4, v104, v141
	;; [unrolled: 1-line block ×3, first 2 shown]
	v_alignbit_b32 v7, v12, v2, 16
	v_pack_b32_f16 v2, v9, v2
	v_pack_b32_f16 v8, v16, v107
	v_perm_b32 v9, v54, v17, 0x5040100
	ds_store_2addr_b32 v5, v1, v0 offset0:8 offset1:9
	ds_store_2addr_b32 v5, v4, v3 offset0:10 offset1:11
	ds_store_b32 v5, v6 offset:48
	ds_store_2addr_b32 v5, v2, v7 offset0:13 offset1:14
	ds_store_2addr_b32 v5, v8, v9 offset0:15 offset1:16
.LBB0_7:
	s_wait_alu 0xfffe
	s_or_b32 exec_lo, exec_lo, s0
	v_add_nc_u16 v2, v49, 34
	v_add_nc_u16 v3, v49, 0x44
	v_add_co_u32 v4, s0, 0xffffffef, v49
	s_wait_alu 0xf1ff
	v_add_co_ci_u32_e64 v5, null, 0, -1, s0
	v_and_b32_e32 v0, 0xff, v2
	v_and_b32_e32 v1, 0xff, v3
	v_cmp_gt_u16_e64 s0, 17, v49
	v_add_nc_u16 v7, v49, 0x88
	v_add_nc_u16 v8, v49, 0xcc
	v_mul_lo_u16 v0, 0xf1, v0
	v_mul_lo_u16 v6, 0xf1, v1
	s_wait_alu 0xf1ff
	v_cndmask_b32_e64 v1, v5, 0, s0
	v_and_b32_e32 v12, 0xff, v7
	v_and_b32_e32 v18, 0xff, v8
	v_lshrrev_b16 v11, 12, v0
	v_lshrrev_b16 v16, 12, v6
	v_cndmask_b32_e64 v0, v4, v49, s0
	v_add_co_u32 v4, null, 0xee, v49
	s_delay_alu instid0(VALU_DEP_4) | instskip(NEXT) | instid1(VALU_DEP_4)
	v_mul_lo_u16 v5, v11, 17
	v_mul_lo_u16 v6, v16, 17
	;; [unrolled: 1-line block ×3, first 2 shown]
	s_delay_alu instid0(VALU_DEP_4)
	v_and_b32_e32 v19, 0xffff, v4
	v_mul_lo_u16 v18, 0xf1, v18
	v_sub_nc_u16 v24, v2, v5
	v_sub_nc_u16 v3, v3, v6
	v_add_nc_u16 v5, v49, 0x66
	v_lshlrev_b64_e32 v[1:2], 2, v[0:1]
	v_lshrrev_b16 v27, 12, v12
	v_and_b32_e32 v6, 0xff, v24
	v_and_b32_e32 v25, 0xff, v3
	;; [unrolled: 1-line block ×3, first 2 shown]
	v_lshrrev_b16 v29, 12, v18
	v_add_co_u32 v1, s0, s2, v1
	v_lshlrev_b32_e32 v3, 2, v6
	v_add_nc_u16 v6, v49, 0xaa
	v_mul_lo_u16 v9, 0xf1, v9
	s_wait_alu 0xf1ff
	v_add_co_ci_u32_e64 v2, s0, s3, v2, s0
	s_load_b128 s[4:7], s[4:5], 0x0
	v_and_b32_e32 v13, 0xff, v6
	v_lshrrev_b16 v26, 12, v9
	v_mul_u32_u24_e32 v9, 0xf0f1, v19
	global_wb scope:SCOPE_SE
	s_wait_dscnt 0x0
	s_wait_kmcnt 0x0
	s_barrier_signal -1
	v_mul_lo_u16 v13, 0xf1, v13
	s_barrier_wait -1
	v_lshrrev_b32_e32 v30, 20, v9
	global_inv scope:SCOPE_SE
	global_load_b32 v61, v[1:2], off
	v_lshrrev_b16 v28, 12, v13
	v_mul_lo_u16 v12, v26, 17
	v_mul_lo_u16 v9, v27, 17
	;; [unrolled: 1-line block ×5, first 2 shown]
	v_sub_nc_u16 v2, v5, v12
	v_sub_nc_u16 v5, v7, v9
	;; [unrolled: 1-line block ×5, first 2 shown]
	v_and_b32_e32 v51, 0xff, v2
	v_and_b32_e32 v64, 0xff, v5
	;; [unrolled: 1-line block ×5, first 2 shown]
	v_lshlrev_b32_e32 v10, 2, v25
	v_lshlrev_b32_e32 v2, 2, v51
	;; [unrolled: 1-line block ×6, first 2 shown]
	s_clause 0x6
	global_load_b32 v63, v3, s[2:3]
	global_load_b32 v62, v10, s[2:3]
	;; [unrolled: 1-line block ×7, first 2 shown]
	v_add_lshl_u32 v55, v14, v49, 2
	v_cmp_lt_u16_e64 s0, 16, v49
	ds_load_2addr_b32 v[1:2], v55 offset1:34
	ds_load_2addr_b32 v[3:4], v55 offset0:68 offset1:102
	s_wait_alu 0xf1ff
	v_cndmask_b32_e64 v9, 0, 34, s0
	v_add_nc_u32_e32 v81, 0x400, v55
	ds_load_2addr_b32 v[5:6], v55 offset0:136 offset1:170
	ds_load_2addr_b32 v[7:8], v55 offset0:204 offset1:238
	v_mad_u16 v11, v11, 34, v24
	v_add_nc_u32_e32 v0, v0, v9
	ds_load_2addr_b32 v[9:10], v81 offset0:16 offset1:50
	ds_load_2addr_b32 v[18:19], v81 offset0:84 offset1:118
	ds_load_2addr_b32 v[20:21], v81 offset0:152 offset1:186
	ds_load_2addr_b32 v[22:23], v81 offset0:220 offset1:254
	v_mad_u16 v30, v30, 34, v31
	global_wb scope:SCOPE_SE
	s_wait_loadcnt_dscnt 0x0
	v_and_b32_e32 v11, 0xff, v11
	v_add_lshl_u32 v65, v14, v0, 2
	v_and_b32_e32 v0, 0xffff, v16
	v_and_b32_e32 v16, 0xffff, v26
	;; [unrolled: 1-line block ×5, first 2 shown]
	v_mul_u32_u24_e32 v0, 34, v0
	v_add_lshl_u32 v71, v14, v11, 2
	v_mul_u32_u24_e32 v26, 34, v26
	v_mul_u32_u24_e32 v27, 34, v27
	;; [unrolled: 1-line block ×3, first 2 shown]
	v_add_nc_u32_e32 v0, v0, v25
	v_lshrrev_b32_e32 v29, 16, v1
	v_lshrrev_b32_e32 v68, 16, v9
	v_add_nc_u32_e32 v25, v26, v64
	v_add_nc_u32_e32 v26, v27, v66
	;; [unrolled: 1-line block ×3, first 2 shown]
	v_and_b32_e32 v28, 0xffff, v30
	v_mul_u32_u24_e32 v16, 34, v16
	v_add_lshl_u32 v72, v14, v0, 2
	v_lshrrev_b32_e32 v89, 16, v10
	v_lshrrev_b32_e32 v90, 16, v18
	;; [unrolled: 1-line block ×3, first 2 shown]
	v_add_nc_u32_e32 v16, v16, v51
	v_lshrrev_b32_e32 v92, 16, v20
	v_lshrrev_b32_e32 v24, 16, v21
	v_lshrrev_b32_e32 v93, 16, v22
	v_lshrrev_b32_e32 v94, 16, v23
	v_add_lshl_u32 v66, v14, v16, 2
	v_add_lshl_u32 v67, v14, v25, 2
	;; [unrolled: 1-line block ×4, first 2 shown]
	v_lshrrev_b32_e32 v82, 16, v2
	v_lshrrev_b32_e32 v83, 16, v3
	;; [unrolled: 1-line block ×7, first 2 shown]
	s_barrier_signal -1
	s_barrier_wait -1
	global_inv scope:SCOPE_SE
	v_mad_co_u64_u32 v[12:13], null, v49, 60, s[2:3]
	v_lshrrev_b32_e32 v78, 16, v61
	s_delay_alu instid0(VALU_DEP_1) | instskip(SKIP_1) | instid1(VALU_DEP_2)
	v_mul_f16_e32 v11, v68, v78
	v_mul_f16_e32 v30, v9, v78
	v_fma_f16 v0, v9, v61, -v11
	s_delay_alu instid0(VALU_DEP_2) | instskip(SKIP_1) | instid1(VALU_DEP_3)
	v_fmac_f16_e32 v30, v68, v61
	v_add_lshl_u32 v68, v14, v26, 2
	v_sub_f16_e32 v0, v1, v0
	s_delay_alu instid0(VALU_DEP_3)
	v_sub_f16_e32 v9, v29, v30
	v_lshrrev_b32_e32 v80, 16, v63
	v_lshrrev_b32_e32 v79, 16, v62
	;; [unrolled: 1-line block ×7, first 2 shown]
	v_fma_f16 v1, v1, 2.0, -v0
	v_fma_f16 v11, v29, 2.0, -v9
	v_pack_b32_f16 v0, v0, v9
	v_mul_f16_e32 v9, v89, v80
	v_mul_f16_e32 v14, v10, v80
	;; [unrolled: 1-line block ×14, first 2 shown]
	v_pack_b32_f16 v1, v1, v11
	v_fma_f16 v9, v10, v63, -v9
	v_fmac_f16_e32 v14, v89, v63
	v_fma_f16 v10, v18, v62, -v16
	v_fmac_f16_e32 v25, v90, v62
	;; [unrolled: 2-line block ×7, first 2 shown]
	ds_store_2addr_b32 v65, v1, v0 offset1:17
	v_sub_f16_e32 v0, v2, v9
	v_sub_f16_e32 v1, v82, v14
	;; [unrolled: 1-line block ×14, first 2 shown]
	v_fma_f16 v2, v2, 2.0, -v0
	v_fma_f16 v25, v82, 2.0, -v1
	;; [unrolled: 1-line block ×14, first 2 shown]
	v_pack_b32_f16 v0, v0, v1
	v_pack_b32_f16 v2, v2, v25
	;; [unrolled: 1-line block ×14, first 2 shown]
	ds_store_2addr_b32 v71, v2, v0 offset1:17
	ds_store_2addr_b32 v72, v3, v1 offset1:17
	;; [unrolled: 1-line block ×7, first 2 shown]
	global_wb scope:SCOPE_SE
	s_wait_dscnt 0x0
	s_barrier_signal -1
	s_barrier_wait -1
	global_inv scope:SCOPE_SE
	s_clause 0x3
	global_load_b128 v[8:11], v[12:13], off offset:68
	global_load_b128 v[4:7], v[12:13], off offset:84
	;; [unrolled: 1-line block ×3, first 2 shown]
	global_load_b96 v[12:14], v[12:13], off offset:116
	ds_load_2addr_b32 v[18:19], v55 offset1:34
	ds_load_2addr_b32 v[20:21], v55 offset0:68 offset1:102
	ds_load_2addr_b32 v[22:23], v55 offset0:136 offset1:170
	ds_load_2addr_b32 v[24:25], v55 offset0:204 offset1:238
	ds_load_2addr_b32 v[26:27], v81 offset0:16 offset1:50
	ds_load_2addr_b32 v[28:29], v81 offset0:84 offset1:118
	ds_load_2addr_b32 v[30:31], v81 offset0:152 offset1:186
	ds_load_2addr_b32 v[96:97], v81 offset0:220 offset1:254
	v_lshl_add_u32 v51, v49, 2, v52
	v_lshl_add_u32 v64, v49, 2, v52
	s_delay_alu instid0(VALU_DEP_2)
	v_add_nc_u32_e32 v113, 0x200, v51
	v_add_nc_u32_e32 v114, 0x400, v51
	s_wait_dscnt 0x7
	v_lshrrev_b32_e32 v98, 16, v19
	s_wait_dscnt 0x6
	v_lshrrev_b32_e32 v99, 16, v20
	v_lshrrev_b32_e32 v100, 16, v21
	s_wait_dscnt 0x5
	v_lshrrev_b32_e32 v101, 16, v22
	;; [unrolled: 3-line block ×7, first 2 shown]
	v_lshrrev_b32_e32 v112, 16, v97
	v_lshrrev_b32_e32 v16, 16, v18
	s_wait_loadcnt 0x3
	v_lshrrev_b32_e32 v95, 16, v8
	v_lshrrev_b32_e32 v94, 16, v9
	v_lshrrev_b32_e32 v93, 16, v10
	v_lshrrev_b32_e32 v92, 16, v11
	s_wait_loadcnt 0x2
	v_lshrrev_b32_e32 v91, 16, v4
	v_lshrrev_b32_e32 v90, 16, v5
	v_lshrrev_b32_e32 v89, 16, v6
	v_lshrrev_b32_e32 v88, 16, v7
	s_wait_loadcnt 0x1
	v_lshrrev_b32_e32 v87, 16, v0
	v_lshrrev_b32_e32 v86, 16, v1
	v_lshrrev_b32_e32 v85, 16, v2
	v_lshrrev_b32_e32 v84, 16, v3
	s_wait_loadcnt 0x0
	v_lshrrev_b32_e32 v83, 16, v12
	v_lshrrev_b32_e32 v82, 16, v13
	v_lshrrev_b32_e32 v81, 16, v14
	v_mul_f16_e32 v115, v98, v95
	v_mul_f16_e32 v116, v19, v95
	;; [unrolled: 1-line block ×13, first 2 shown]
	v_mul_f16_e64 v128, v25, v89
	v_mul_f16_e64 v129, v105, v88
	;; [unrolled: 1-line block ×17, first 2 shown]
	v_fma_f16 v19, v19, v8, -v115
	v_fmac_f16_e32 v116, v98, v8
	v_fma_f16 v20, v20, v9, -v117
	v_fmac_f16_e32 v118, v99, v9
	;; [unrolled: 2-line block ×6, first 2 shown]
	v_fma_f16 v25, v25, v6, -v127
	v_fmac_f16_e64 v128, v104, v6
	v_fma_f16 v26, v26, v7, -v129
	v_fmac_f16_e64 v130, v105, v7
	;; [unrolled: 2-line block ×9, first 2 shown]
	v_sub_f16_e32 v26, v18, v26
	v_sub_f16_e64 v98, v16, v130
	v_sub_f16_e32 v30, v22, v30
	v_sub_f16_e64 v99, v122, v138
	;; [unrolled: 2-line block ×8, first 2 shown]
	v_fma_f16 v18, v18, 2.0, -v26
	v_fma_f16 v16, v16, 2.0, -v98
	;; [unrolled: 1-line block ×16, first 2 shown]
	v_sub_f16_e32 v99, v26, v99
	v_add_f16_e32 v30, v98, v30
	v_sub_f16_e32 v101, v28, v101
	v_add_f16_e32 v96, v100, v96
	;; [unrolled: 2-line block ×4, first 2 shown]
	v_sub_f16_e32 v22, v18, v22
	v_sub_f16_e32 v106, v16, v106
	v_fma_f16 v26, v26, 2.0, -v99
	v_fma_f16 v115, v98, 2.0, -v30
	v_sub_f16_e32 v24, v20, v24
	v_sub_f16_e32 v98, v107, v108
	v_fma_f16 v28, v28, 2.0, -v101
	v_fma_f16 v100, v100, 2.0, -v96
	;; [unrolled: 4-line block ×4, first 2 shown]
	v_fmamk_f16 v112, v101, 0x39a8, v99
	v_fmamk_f16 v116, v96, 0x39a8, v30
	;; [unrolled: 1-line block ×4, first 2 shown]
	v_fma_f16 v18, v18, 2.0, -v22
	v_fma_f16 v119, v16, 2.0, -v106
	v_fma_f16 v16, v20, 2.0, -v24
	v_fma_f16 v20, v107, 2.0, -v98
	v_fma_f16 v19, v19, 2.0, -v23
	v_fma_f16 v107, v109, 2.0, -v108
	v_fma_f16 v21, v21, 2.0, -v25
	v_fma_f16 v109, v111, 2.0, -v110
	v_fmamk_f16 v120, v28, 0xb9a8, v26
	v_fmamk_f16 v121, v100, 0xb9a8, v115
	v_sub_f16_e32 v111, v22, v98
	v_add_f16_e32 v122, v106, v24
	v_fmac_f16_e32 v112, 0xb9a8, v96
	v_fmac_f16_e32 v116, 0x39a8, v101
	v_fmamk_f16 v96, v29, 0xb9a8, v27
	v_fmamk_f16 v123, v104, 0xb9a8, v102
	v_sub_f16_e32 v24, v23, v110
	v_add_f16_e32 v110, v108, v25
	v_fmac_f16_e32 v117, 0xb9a8, v97
	v_fmac_f16_e32 v118, 0x39a8, v105
	v_sub_f16_e32 v97, v18, v16
	v_sub_f16_e32 v105, v119, v20
	v_fmac_f16_e32 v120, 0xb9a8, v100
	v_fmac_f16_e32 v121, 0x39a8, v28
	v_fma_f16 v22, v22, 2.0, -v111
	v_fma_f16 v124, v99, 2.0, -v112
	;; [unrolled: 1-line block ×3, first 2 shown]
	v_sub_f16_e32 v20, v19, v21
	v_sub_f16_e32 v30, v107, v109
	v_fmac_f16_e32 v96, 0xb9a8, v104
	v_fmac_f16_e32 v123, 0x39a8, v29
	v_fma_f16 v23, v23, 2.0, -v24
	v_fma_f16 v29, v108, 2.0, -v110
	;; [unrolled: 1-line block ×5, first 2 shown]
	v_fmamk_f16 v99, v110, 0x39a8, v122
	v_fma_f16 v18, v18, 2.0, -v97
	v_fma_f16 v109, v119, 2.0, -v105
	;; [unrolled: 1-line block ×8, first 2 shown]
	v_fmamk_f16 v25, v23, 0xb9a8, v22
	v_fmamk_f16 v26, v104, 0xb61f, v124
	;; [unrolled: 1-line block ×5, first 2 shown]
	v_add_f16_e32 v101, v105, v20
	v_fmamk_f16 v20, v96, 0x361f, v120
	v_fmamk_f16 v100, v123, 0x361f, v121
	;; [unrolled: 1-line block ×4, first 2 shown]
	v_sub_f16_e32 v27, v97, v30
	v_fmac_f16_e32 v99, 0x39a8, v24
	v_sub_f16_e32 v31, v18, v19
	v_sub_f16_e32 v106, v109, v106
	v_fmamk_f16 v24, v126, 0xbb64, v119
	v_fmamk_f16 v107, v127, 0xbb64, v115
	v_fmac_f16_e32 v25, 0xb9a8, v29
	v_fmac_f16_e32 v26, 0xbb64, v108
	;; [unrolled: 1-line block ×9, first 2 shown]
	v_fma_f16 v23, v97, 2.0, -v27
	v_fma_f16 v104, v105, 2.0, -v101
	;; [unrolled: 1-line block ×4, first 2 shown]
	v_fmac_f16_e32 v24, 0xb61f, v127
	v_fmac_f16_e32 v107, 0x361f, v126
	v_fma_f16 v19, v22, 2.0, -v25
	v_fma_f16 v22, v124, 2.0, -v26
	;; [unrolled: 1-line block ×10, first 2 shown]
	v_pack_b32_f16 v120, v23, v104
	v_fma_f16 v18, v119, 2.0, -v24
	v_fma_f16 v112, v115, 2.0, -v107
	v_pack_b32_f16 v115, v96, v97
	v_pack_b32_f16 v127, v22, v110
	;; [unrolled: 1-line block ×14, first 2 shown]
	ds_store_b32 v64, v115
	v_pack_b32_f16 v115, v18, v112
	ds_store_2addr_b32 v51, v127, v120 offset0:102 offset1:136
	ds_store_2addr_b32 v51, v128, v121 offset0:170 offset1:204
	;; [unrolled: 1-line block ×6, first 2 shown]
	ds_store_b32 v51, v118 offset:2040
	ds_store_2addr_b32 v51, v115, v119 offset0:34 offset1:68
	global_wb scope:SCOPE_SE
	s_wait_dscnt 0x0
	s_barrier_signal -1
	s_barrier_wait -1
	global_inv scope:SCOPE_SE
	s_and_saveexec_b32 s2, vcc_lo
	s_cbranch_execz .LBB0_9
; %bb.8:
	global_load_b32 v115, v33, s[8:9] offset:2176
	s_add_nc_u64 s[0:1], s[8:9], 0x880
	s_clause 0xf
	global_load_b32 v131, v33, s[0:1] offset:128
	global_load_b32 v132, v33, s[0:1] offset:256
	;; [unrolled: 1-line block ×16, first 2 shown]
	ds_load_b32 v116, v50
	v_add_nc_u32_e32 v147, 0x600, v51
	s_wait_dscnt 0x0
	v_lshrrev_b32_e32 v117, 16, v116
	s_wait_loadcnt 0xf
	v_lshrrev_b32_e32 v148, 16, v131
	s_wait_loadcnt 0xe
	;; [unrolled: 2-line block ×12, first 2 shown]
	v_lshrrev_b32_e32 v159, 16, v142
	v_lshrrev_b32_e32 v118, 16, v115
	s_wait_loadcnt 0x3
	v_lshrrev_b32_e32 v160, 16, v143
	s_wait_loadcnt 0x2
	;; [unrolled: 2-line block ×4, first 2 shown]
	v_lshrrev_b32_e32 v163, 16, v146
	v_mul_f16_e32 v119, v117, v118
	v_mul_f16_e32 v118, v116, v118
	s_delay_alu instid0(VALU_DEP_2) | instskip(NEXT) | instid1(VALU_DEP_2)
	v_fma_f16 v116, v116, v115, -v119
	v_fmac_f16_e32 v118, v117, v115
	s_delay_alu instid0(VALU_DEP_1)
	v_pack_b32_f16 v115, v116, v118
	ds_store_b32 v50, v115
	ds_load_2addr_b32 v[115:116], v51 offset0:32 offset1:64
	ds_load_2addr_b32 v[117:118], v51 offset0:96 offset1:128
	;; [unrolled: 1-line block ×8, first 2 shown]
	s_wait_dscnt 0x7
	v_lshrrev_b32_e32 v164, 16, v115
	v_lshrrev_b32_e32 v166, 16, v116
	s_wait_dscnt 0x6
	v_lshrrev_b32_e32 v168, 16, v117
	v_lshrrev_b32_e32 v170, 16, v118
	;; [unrolled: 3-line block ×5, first 2 shown]
	v_mul_f16_e64 v165, v115, v148
	v_mul_f16_e64 v167, v116, v149
	s_wait_dscnt 0x2
	v_lshrrev_b32_e32 v184, 16, v125
	v_lshrrev_b32_e32 v186, 16, v126
	s_wait_dscnt 0x1
	v_lshrrev_b32_e32 v188, 16, v127
	v_lshrrev_b32_e32 v190, 16, v128
	s_wait_dscnt 0x0
	v_lshrrev_b32_e32 v192, 16, v129
	v_lshrrev_b32_e32 v194, 16, v130
	v_mul_f16_e64 v148, v164, v148
	v_mul_f16_e64 v149, v166, v149
	;; [unrolled: 1-line block ×24, first 2 shown]
	v_fmac_f16_e64 v165, v164, v131
	v_fmac_f16_e64 v167, v166, v132
	v_mul_f16_e64 v158, v184, v158
	v_mul_f16_e64 v159, v186, v159
	;; [unrolled: 1-line block ×6, first 2 shown]
	v_fma_f16 v115, v115, v131, -v148
	v_fma_f16 v116, v116, v132, -v149
	v_fmac_f16_e64 v169, v168, v133
	v_fmac_f16_e64 v171, v170, v134
	v_fma_f16 v117, v117, v133, -v150
	v_fma_f16 v118, v118, v134, -v151
	v_fmac_f16_e64 v173, v172, v135
	v_fmac_f16_e64 v175, v174, v136
	;; [unrolled: 4-line block ×5, first 2 shown]
	v_fmac_f16_e64 v189, v188, v143
	v_fmac_f16_e64 v191, v190, v144
	;; [unrolled: 1-line block ×4, first 2 shown]
	v_fma_f16 v125, v125, v141, -v158
	v_fma_f16 v126, v126, v142, -v159
	;; [unrolled: 1-line block ×6, first 2 shown]
	v_pack_b32_f16 v115, v115, v165
	v_pack_b32_f16 v116, v116, v167
	;; [unrolled: 1-line block ×16, first 2 shown]
	ds_store_2addr_b32 v51, v115, v116 offset0:32 offset1:64
	ds_store_2addr_b32 v51, v117, v118 offset0:96 offset1:128
	;; [unrolled: 1-line block ×8, first 2 shown]
.LBB0_9:
	s_wait_alu 0xfffe
	s_or_b32 exec_lo, exec_lo, s2
	global_wb scope:SCOPE_SE
	s_wait_dscnt 0x0
	s_barrier_signal -1
	s_barrier_wait -1
	global_inv scope:SCOPE_SE
	s_and_saveexec_b32 s0, vcc_lo
	s_cbranch_execz .LBB0_11
; %bb.10:
	v_add_nc_u32_e32 v16, 0x200, v64
	v_add_nc_u32_e32 v17, 0x400, v64
	ds_load_b32 v96, v50
	ds_load_2addr_b32 v[18:19], v64 offset0:32 offset1:64
	ds_load_2addr_b32 v[22:23], v64 offset0:96 offset1:128
	;; [unrolled: 1-line block ×5, first 2 shown]
	v_add_nc_u32_e32 v16, 0x600, v64
	ds_load_2addr_b32 v[26:27], v17 offset0:96 offset1:128
	ds_load_2addr_b32 v[20:21], v17 offset0:160 offset1:192
	;; [unrolled: 1-line block ×3, first 2 shown]
	s_wait_dscnt 0x8
	v_lshrrev_b32_e32 v97, 16, v96
	s_wait_dscnt 0x7
	v_lshrrev_b32_e32 v112, 16, v18
	v_lshrrev_b32_e32 v111, 16, v19
	s_wait_dscnt 0x6
	v_lshrrev_b32_e32 v110, 16, v22
	;; [unrolled: 3-line block ×8, first 2 shown]
	v_lshrrev_b32_e32 v54, 16, v17
.LBB0_11:
	s_wait_alu 0xfffe
	s_or_b32 exec_lo, exec_lo, s0
	global_wb scope:SCOPE_SE
	s_barrier_signal -1
	s_barrier_wait -1
	global_inv scope:SCOPE_SE
	s_and_saveexec_b32 s0, vcc_lo
	s_cbranch_execz .LBB0_13
; %bb.12:
	v_add_f16_e32 v113, v18, v96
	v_sub_f16_e32 v115, v30, v25
	v_add_f16_e32 v114, v25, v30
	v_add_f16_e32 v123, v54, v112
	;; [unrolled: 1-line block ×4, first 2 shown]
	v_sub_f16_e64 v129, v112, v54
	v_sub_f16_e64 v130, v111, v98
	v_add_f16_e32 v127, v99, v110
	v_add_f16_e32 v126, v100, v104
	;; [unrolled: 1-line block ×3, first 2 shown]
	v_mul_f16_e64 v121, 0xb5c8, v129
	v_mul_f16_e64 v120, 0xb964, v130
	v_mul_f16_e32 v118, 0x3722, v127
	v_add_f16_e32 v125, v101, v109
	v_add_f16_e32 v113, v23, v113
	v_add_f16_e32 v122, v102, v105
	v_and_b32_e32 v53, 0xffff, v53
	v_mul_f16_e64 v137, 0xba62, v130
	v_mul_f16_e64 v156, 0xbbf7, v130
	v_add_f16_e32 v113, v28, v113
	v_mul_f16_e64 v169, 0x3836, v130
	v_lshl_add_u32 v52, v53, 2, v52
	v_mul_f16_e64 v187, 0xb1e1, v130
	v_mul_f16_e64 v202, 0x3b29, v130
	v_add_f16_e32 v113, v29, v113
	v_mul_f16_e64 v216, 0x3bb2, v130
	v_mul_f16_e64 v130, 0x35c8, v130
	s_delay_alu instid0(VALU_DEP_3) | instskip(SKIP_1) | instid1(VALU_DEP_2)
	v_add_f16_e32 v113, v30, v113
	v_add_f16_e32 v30, v24, v31
	;; [unrolled: 1-line block ×3, first 2 shown]
	v_sub_f16_e32 v113, v31, v24
	v_sub_f16_e32 v31, v28, v27
	v_add_f16_e32 v28, v27, v28
	s_delay_alu instid0(VALU_DEP_4) | instskip(NEXT) | instid1(VALU_DEP_1)
	v_add_f16_e32 v24, v24, v116
	v_add_f16_e32 v116, v25, v24
	v_sub_f16_e32 v25, v29, v26
	v_add_f16_e32 v24, v26, v29
	v_sub_f16_e32 v29, v22, v21
	s_delay_alu instid0(VALU_DEP_4) | instskip(NEXT) | instid1(VALU_DEP_1)
	v_add_f16_e32 v26, v26, v116
	v_add_f16_e32 v116, v27, v26
	v_sub_f16_e32 v26, v23, v20
	v_add_f16_e32 v27, v21, v22
	v_add_f16_e32 v22, v20, v23
	;; [unrolled: 1-line block ×4, first 2 shown]
	s_delay_alu instid0(VALU_DEP_1)
	v_add_f16_e32 v116, v21, v20
	v_sub_f16_e32 v21, v18, v17
	v_sub_f16_e32 v20, v19, v16
	v_add_f16_e32 v18, v16, v19
	v_mul_f16_e32 v19, 0x39e9, v124
	v_add_f16_e32 v16, v16, v116
	v_mul_f16_e32 v116, 0x3b76, v123
	v_mul_f16_e64 v147, 0xbbf7, v20
	v_fma_f16 v138, v18, 0xb8d2, -v137
	v_fmac_f16_e64 v137, 0xb8d2, v18
	v_add_f16_e64 v131, v17, v16
	v_fmamk_f16 v16, v21, 0x35c8, v116
	v_fmamk_f16 v17, v20, 0x3964, v19
	v_fma_f16 v148, v124, 0x2de8, -v147
	v_fma_f16 v157, v18, 0x2de8, -v156
	v_fmac_f16_e64 v156, 0x2de8, v18
	v_add_f16_e32 v16, v97, v16
	v_fma_f16 v170, v18, 0xbacd, -v169
	v_fmac_f16_e64 v169, 0xbacd, v18
	v_mul_f16_e64 v175, 0xb1e1, v20
	v_fma_f16 v188, v18, 0xbbdd, -v187
	v_add_f16_e32 v16, v17, v16
	v_add_f16_e32 v17, v112, v97
	v_mul_f16_e32 v112, 0x2de8, v126
	v_fma_f16 v176, v124, 0xbbdd, -v175
	v_fmac_f16_e64 v187, 0xbbdd, v18
	v_fma_f16 v203, v18, 0x3722, -v202
	v_add_f16_e32 v117, v111, v17
	v_fmamk_f16 v17, v23, 0x3b76, v121
	v_fmamk_f16 v111, v18, 0x39e9, v120
	v_fmac_f16_e64 v202, 0x3722, v18
	v_mul_f16_e64 v210, 0x3bb2, v20
	v_add_f16_e32 v117, v110, v117
	v_add_f16_e32 v17, v96, v17
	v_sub_f16_e32 v110, v110, v99
	v_fma_f16 v217, v18, 0xb461, -v216
	v_fma_f16 v211, v124, 0xb461, -v210
	v_add_f16_e32 v117, v104, v117
	v_add_f16_e64 v132, v111, v17
	v_fmamk_f16 v17, v29, 0x3b29, v118
	v_mul_f16_e32 v111, 0xb461, v125
	v_fmac_f16_e64 v216, 0xb461, v18
	v_add_f16_e32 v117, v109, v117
	v_fmac_f16_e32 v116, 0xb5c8, v21
	v_add_f16_e32 v16, v17, v16
	v_fmamk_f16 v17, v26, 0x3bf7, v112
	v_fmac_f16_e32 v19, 0xb964, v20
	v_add_f16_e32 v117, v105, v117
	v_fmac_f16_e32 v118, 0xbb29, v29
	v_fmac_f16_e32 v112, 0xbbf7, v26
	v_add_f16_e32 v16, v17, v16
	v_fmamk_f16 v17, v31, 0x3bb2, v111
	v_add_f16_e32 v117, v108, v117
	v_fmac_f16_e32 v111, 0xbbb2, v31
	s_delay_alu instid0(VALU_DEP_3) | instskip(SKIP_1) | instid1(VALU_DEP_4)
	v_add_f16_e32 v16, v17, v16
	v_mul_f16_e32 v17, 0xb8d2, v122
	v_add_f16_e64 v134, v106, v117
	v_add_f16_e32 v117, v107, v106
	s_delay_alu instid0(VALU_DEP_3) | instskip(NEXT) | instid1(VALU_DEP_3)
	v_fmamk_f16 v119, v25, 0x3a62, v17
	v_add_f16_e64 v134, v107, v134
	v_fmac_f16_e32 v17, 0xba62, v25
	s_delay_alu instid0(VALU_DEP_3) | instskip(SKIP_1) | instid1(VALU_DEP_4)
	v_add_f16_e64 v128, v119, v16
	v_add_f16_e32 v119, v103, v108
	v_add_f16_e64 v134, v103, v134
	s_delay_alu instid0(VALU_DEP_2) | instskip(NEXT) | instid1(VALU_DEP_2)
	v_mul_f16_e32 v16, 0xbacd, v119
	v_add_f16_e64 v134, v102, v134
	s_delay_alu instid0(VALU_DEP_2) | instskip(SKIP_1) | instid1(VALU_DEP_2)
	v_fma_f16 v133, 0x3836, v115, v16
	v_fmac_f16_e32 v16, 0xb836, v115
	v_add_f16_e64 v133, v133, v128
	v_sub_f16_e64 v128, v106, v107
	v_mul_f16_e32 v106, 0xbb29, v110
	s_delay_alu instid0(VALU_DEP_1) | instskip(NEXT) | instid1(VALU_DEP_1)
	v_fmamk_f16 v107, v27, 0x3722, v106
	v_add_f16_e64 v132, v107, v132
	v_sub_f16_e32 v107, v108, v103
	v_sub_f16_e32 v108, v104, v100
	s_delay_alu instid0(VALU_DEP_1) | instskip(NEXT) | instid1(VALU_DEP_1)
	v_mul_f16_e32 v103, 0xbbf7, v108
	v_fmamk_f16 v104, v22, 0x2de8, v103
	s_delay_alu instid0(VALU_DEP_1) | instskip(SKIP_2) | instid1(VALU_DEP_1)
	v_add_f16_e64 v132, v104, v132
	v_sub_f16_e32 v104, v105, v102
	v_sub_f16_e32 v105, v109, v101
	v_mul_f16_e32 v102, 0xbbb2, v105
	s_delay_alu instid0(VALU_DEP_1) | instskip(NEXT) | instid1(VALU_DEP_1)
	v_fmamk_f16 v109, v28, 0xb461, v102
	v_add_f16_e64 v109, v109, v132
	v_add_f16_e64 v132, v101, v134
	v_mul_f16_e32 v101, 0xbbdd, v117
	s_delay_alu instid0(VALU_DEP_2) | instskip(NEXT) | instid1(VALU_DEP_2)
	v_add_f16_e64 v132, v100, v132
	v_fma_f16 v134, 0x31e1, v113, v101
	v_mul_f16_e32 v100, 0xba62, v104
	v_fmac_f16_e32 v101, 0xb1e1, v113
	s_delay_alu instid0(VALU_DEP_4) | instskip(NEXT) | instid1(VALU_DEP_4)
	v_add_f16_e64 v132, v99, v132
	v_add_f16_e64 v133, v134, v133
	s_delay_alu instid0(VALU_DEP_4) | instskip(SKIP_1) | instid1(VALU_DEP_4)
	v_fma_f16 v134, 0xb8d2, v24, v100
	v_mul_f16_e32 v99, 0xb836, v107
	v_add_f16_e64 v132, v98, v132
	v_mul_f16_e64 v98, 0xb1e1, v128
	s_delay_alu instid0(VALU_DEP_4) | instskip(NEXT) | instid1(VALU_DEP_4)
	v_add_f16_e64 v109, v134, v109
	v_fma_f16 v134, 0xbacd, v114, v99
	s_delay_alu instid0(VALU_DEP_4) | instskip(NEXT) | instid1(VALU_DEP_2)
	v_add_f16_e64 v54, v54, v132
	v_add_f16_e64 v109, v134, v109
	v_fma_f16 v134, 0xbbdd, v30, v98
	s_delay_alu instid0(VALU_DEP_3) | instskip(NEXT) | instid1(VALU_DEP_2)
	v_pack_b32_f16 v54, v131, v54
	v_add_f16_e64 v109, v134, v109
	s_delay_alu instid0(VALU_DEP_1) | instskip(SKIP_2) | instid1(VALU_DEP_2)
	v_pack_b32_f16 v53, v109, v133
	v_mul_f16_e32 v109, 0xbb29, v21
	v_mul_f16_e64 v133, 0xba62, v20
	v_fma_f16 v132, v123, 0x3722, -v109
	s_delay_alu instid0(VALU_DEP_2) | instskip(SKIP_2) | instid1(VALU_DEP_4)
	v_fma_f16 v134, v124, 0xb8d2, -v133
	v_fmamk_f16 v109, v123, 0x3722, v109
	v_fma_f16 v133, 0xb8d2, v124, v133
	v_add_f16_e64 v132, v97, v132
	s_delay_alu instid0(VALU_DEP_3) | instskip(NEXT) | instid1(VALU_DEP_2)
	v_add_f16_e32 v109, v97, v109
	v_add_f16_e64 v132, v134, v132
	v_mul_f16_e64 v134, 0x31e1, v29
	s_delay_alu instid0(VALU_DEP_3) | instskip(NEXT) | instid1(VALU_DEP_2)
	v_add_f16_e64 v109, v133, v109
	v_fma_f16 v135, v127, 0xbbdd, -v134
	v_fma_f16 v133, 0xbbdd, v127, v134
	s_delay_alu instid0(VALU_DEP_2) | instskip(SKIP_1) | instid1(VALU_DEP_3)
	v_add_f16_e64 v132, v135, v132
	v_mul_f16_e64 v135, 0xbb29, v129
	v_add_f16_e64 v109, v133, v109
	s_delay_alu instid0(VALU_DEP_2) | instskip(SKIP_1) | instid1(VALU_DEP_2)
	v_fma_f16 v136, v23, 0x3722, -v135
	v_fmac_f16_e64 v135, 0x3722, v23
	v_add_f16_e64 v133, v96, v136
	s_delay_alu instid0(VALU_DEP_2) | instskip(SKIP_1) | instid1(VALU_DEP_3)
	v_add_f16_e64 v135, v96, v135
	v_fma_f16 v136, 0xbbdd, v124, v175
	v_add_f16_e64 v133, v138, v133
	s_delay_alu instid0(VALU_DEP_3) | instskip(SKIP_2) | instid1(VALU_DEP_2)
	v_add_f16_e64 v135, v137, v135
	v_mul_f16_e64 v137, 0x3bb2, v26
	v_fma_f16 v138, 0xb461, v124, v210
	v_fma_f16 v139, v126, 0xb461, -v137
	v_fma_f16 v134, 0xb461, v126, v137
	s_delay_alu instid0(VALU_DEP_2) | instskip(SKIP_1) | instid1(VALU_DEP_3)
	v_add_f16_e64 v132, v139, v132
	v_mul_f16_e64 v139, 0x31e1, v110
	v_add_f16_e64 v109, v134, v109
	s_delay_alu instid0(VALU_DEP_2) | instskip(SKIP_1) | instid1(VALU_DEP_2)
	v_fma_f16 v140, v27, 0xbbdd, -v139
	v_fmac_f16_e64 v139, 0xbbdd, v27
	v_add_f16_e64 v133, v140, v133
	s_delay_alu instid0(VALU_DEP_2) | instskip(SKIP_1) | instid1(VALU_DEP_1)
	v_add_f16_e64 v135, v139, v135
	v_mul_f16_e64 v139, 0x3964, v31
	v_fma_f16 v141, v125, 0x39e9, -v139
	v_fma_f16 v134, 0x39e9, v125, v139
	s_delay_alu instid0(VALU_DEP_2) | instskip(SKIP_1) | instid1(VALU_DEP_3)
	v_add_f16_e64 v132, v141, v132
	v_mul_f16_e64 v141, 0x3bb2, v108
	v_add_f16_e64 v109, v134, v109
	s_delay_alu instid0(VALU_DEP_2) | instskip(SKIP_1) | instid1(VALU_DEP_2)
	v_fma_f16 v142, v22, 0xb461, -v141
	v_fmac_f16_e64 v141, 0xb461, v22
	v_add_f16_e64 v133, v142, v133
	s_delay_alu instid0(VALU_DEP_2) | instskip(SKIP_2) | instid1(VALU_DEP_2)
	v_add_f16_e64 v135, v141, v135
	v_mul_f16_e64 v141, 0xb5c8, v25
	v_mul_f16_e64 v142, 0x35c8, v20
	v_fma_f16 v143, v122, 0x3b76, -v141
	v_fma_f16 v134, 0x3b76, v122, v141
	s_delay_alu instid0(VALU_DEP_2) | instskip(SKIP_1) | instid1(VALU_DEP_3)
	v_add_f16_e64 v132, v143, v132
	v_mul_f16_e64 v143, 0x3964, v105
	v_add_f16_e64 v109, v134, v109
	s_delay_alu instid0(VALU_DEP_2) | instskip(SKIP_1) | instid1(VALU_DEP_2)
	v_fma_f16 v144, v28, 0x39e9, -v143
	v_fmac_f16_e64 v143, 0x39e9, v28
	v_add_f16_e64 v133, v144, v133
	s_delay_alu instid0(VALU_DEP_2) | instskip(SKIP_1) | instid1(VALU_DEP_1)
	v_add_f16_e64 v135, v143, v135
	v_mul_f16_e64 v143, 0xbbf7, v115
	v_fma_f16 v145, v119, 0x2de8, -v143
	v_fma_f16 v134, 0x2de8, v119, v143
	v_fma_f16 v143, 0x3b76, v124, v142
	s_delay_alu instid0(VALU_DEP_3) | instskip(SKIP_1) | instid1(VALU_DEP_4)
	v_add_f16_e64 v132, v145, v132
	v_mul_f16_e64 v145, 0xb964, v21
	v_add_f16_e64 v109, v134, v109
	s_delay_alu instid0(VALU_DEP_2) | instskip(NEXT) | instid1(VALU_DEP_1)
	v_fma_f16 v146, v123, 0x39e9, -v145
	v_add_f16_e64 v146, v97, v146
	s_delay_alu instid0(VALU_DEP_1) | instskip(SKIP_1) | instid1(VALU_DEP_1)
	v_add_f16_e64 v146, v148, v146
	v_mul_f16_e64 v148, 0xb5c8, v104
	v_fma_f16 v149, v24, 0x3b76, -v148
	v_fmac_f16_e64 v148, 0x3b76, v24
	s_delay_alu instid0(VALU_DEP_2) | instskip(NEXT) | instid1(VALU_DEP_2)
	v_add_f16_e64 v133, v149, v133
	v_add_f16_e64 v135, v148, v135
	v_mul_f16_e64 v148, 0xb836, v113
	s_delay_alu instid0(VALU_DEP_1) | instskip(SKIP_1) | instid1(VALU_DEP_2)
	v_fma_f16 v150, v117, 0xbacd, -v148
	v_fma_f16 v134, 0xbacd, v117, v148
	v_add_f16_e64 v132, v150, v132
	v_mul_f16_e64 v150, 0xba62, v29
	s_delay_alu instid0(VALU_DEP_3) | instskip(NEXT) | instid1(VALU_DEP_2)
	v_add_f16_e64 v109, v134, v109
	v_fma_f16 v151, v127, 0xb8d2, -v150
	s_delay_alu instid0(VALU_DEP_1) | instskip(SKIP_1) | instid1(VALU_DEP_1)
	v_add_f16_e64 v146, v151, v146
	v_mul_f16_e64 v151, 0xbbf7, v107
	v_fma_f16 v152, v114, 0x2de8, -v151
	v_fmac_f16_e64 v151, 0x2de8, v114
	s_delay_alu instid0(VALU_DEP_2) | instskip(NEXT) | instid1(VALU_DEP_2)
	v_add_f16_e64 v133, v152, v133
	v_add_f16_e64 v135, v151, v135
	v_mul_f16_e64 v151, 0xb1e1, v26
	s_delay_alu instid0(VALU_DEP_1) | instskip(NEXT) | instid1(VALU_DEP_1)
	v_fma_f16 v153, v126, 0xbbdd, -v151
	v_add_f16_e64 v146, v153, v146
	v_mul_f16_e64 v153, 0xb836, v128
	s_delay_alu instid0(VALU_DEP_1) | instskip(SKIP_1) | instid1(VALU_DEP_2)
	v_fma_f16 v154, v30, 0xbacd, -v153
	v_fmac_f16_e64 v153, 0xbacd, v30
	v_add_f16_e64 v133, v154, v133
	s_delay_alu instid0(VALU_DEP_2) | instskip(SKIP_1) | instid1(VALU_DEP_2)
	v_add_f16_e64 v135, v153, v135
	v_mul_f16_e64 v153, 0xb964, v129
	v_pack_b32_f16 v131, v135, v132
	s_delay_alu instid0(VALU_DEP_2) | instskip(SKIP_2) | instid1(VALU_DEP_2)
	v_fma_f16 v155, v23, 0x39e9, -v153
	v_fmac_f16_e64 v153, 0x39e9, v23
	v_mul_f16_e64 v135, 0x3836, v20
	v_add_f16_e64 v153, v96, v153
	s_delay_alu instid0(VALU_DEP_1) | instskip(SKIP_1) | instid1(VALU_DEP_1)
	v_add_f16_e64 v153, v156, v153
	v_mul_f16_e64 v156, 0x3836, v31
	v_fma_f16 v158, v125, 0xbacd, -v156
	s_delay_alu instid0(VALU_DEP_1) | instskip(SKIP_1) | instid1(VALU_DEP_1)
	v_add_f16_e64 v146, v158, v146
	v_mul_f16_e64 v158, 0xba62, v110
	v_fma_f16 v159, v27, 0xb8d2, -v158
	v_fmac_f16_e64 v158, 0xb8d2, v27
	s_delay_alu instid0(VALU_DEP_1) | instskip(SKIP_1) | instid1(VALU_DEP_1)
	v_add_f16_e64 v153, v158, v153
	v_mul_f16_e64 v158, 0x3bb2, v25
	v_fma_f16 v160, v122, 0xb461, -v158
	s_delay_alu instid0(VALU_DEP_1) | instskip(SKIP_1) | instid1(VALU_DEP_1)
	v_add_f16_e64 v146, v160, v146
	v_mul_f16_e64 v160, 0xb1e1, v108
	v_fma_f16 v161, v22, 0xbbdd, -v160
	v_fmac_f16_e64 v160, 0xbbdd, v22
	s_delay_alu instid0(VALU_DEP_1) | instskip(SKIP_1) | instid1(VALU_DEP_1)
	v_add_f16_e64 v153, v160, v153
	v_mul_f16_e64 v160, 0x3836, v105
	v_fma_f16 v162, v28, 0xbacd, -v160
	v_fmac_f16_e64 v160, 0xbacd, v28
	s_delay_alu instid0(VALU_DEP_1) | instskip(SKIP_1) | instid1(VALU_DEP_1)
	v_add_f16_e64 v153, v160, v153
	v_mul_f16_e64 v160, 0x3b29, v115
	v_fma_f16 v163, v119, 0x3722, -v160
	s_delay_alu instid0(VALU_DEP_1) | instskip(SKIP_1) | instid1(VALU_DEP_1)
	v_add_f16_e64 v146, v163, v146
	v_mul_f16_e64 v163, 0x3bb2, v104
	v_fma_f16 v164, v24, 0xb461, -v163
	v_fmac_f16_e64 v163, 0xb461, v24
	;; [unrolled: 14-line block ×3, first 2 shown]
	s_delay_alu instid0(VALU_DEP_1) | instskip(NEXT) | instid1(VALU_DEP_1)
	v_add_f16_e64 v153, v166, v153
	v_pack_b32_f16 v132, v153, v146
	ds_store_2addr_b32 v52, v54, v53 offset1:1
	v_mul_f16_e32 v53, 0xbbb2, v21
	v_fma_f16 v146, v124, 0xbacd, -v135
	v_fma_f16 v135, 0xbacd, v124, v135
	ds_store_2addr_b32 v52, v132, v131 offset0:2 offset1:3
	v_mul_f16_e64 v131, 0xb836, v21
	v_fma_f16 v54, v123, 0xb461, -v53
	v_fmamk_f16 v53, v123, 0xb461, v53
	s_delay_alu instid0(VALU_DEP_3) | instskip(NEXT) | instid1(VALU_DEP_3)
	v_fma_f16 v132, v123, 0xbacd, -v131
	v_add_f16_e32 v54, v97, v54
	s_delay_alu instid0(VALU_DEP_3) | instskip(SKIP_1) | instid1(VALU_DEP_4)
	v_add_f16_e32 v53, v97, v53
	v_fma_f16 v131, 0xbacd, v123, v131
	v_add_f16_e64 v132, v97, v132
	s_delay_alu instid0(VALU_DEP_4) | instskip(SKIP_3) | instid1(VALU_DEP_3)
	v_add_f16_e64 v54, v146, v54
	v_mul_f16_e64 v146, 0x3964, v29
	v_add_f16_e64 v53, v135, v53
	v_add_f16_e64 v131, v97, v131
	v_fma_f16 v153, v127, 0x39e9, -v146
	s_delay_alu instid0(VALU_DEP_1) | instskip(SKIP_1) | instid1(VALU_DEP_1)
	v_add_f16_e64 v54, v153, v54
	v_mul_f16_e64 v153, 0xbb29, v26
	v_fma_f16 v166, v126, 0x3722, -v153
	s_delay_alu instid0(VALU_DEP_1) | instskip(SKIP_1) | instid1(VALU_DEP_1)
	v_add_f16_e64 v54, v166, v54
	v_mul_f16_e64 v166, 0xbbb2, v129
	v_fma_f16 v168, v23, 0xb461, -v166
	v_fmac_f16_e64 v166, 0xb461, v23
	s_delay_alu instid0(VALU_DEP_1) | instskip(NEXT) | instid1(VALU_DEP_1)
	v_add_f16_e64 v166, v96, v166
	v_add_f16_e64 v166, v169, v166
	v_mul_f16_e64 v169, 0xb1e1, v31
	s_delay_alu instid0(VALU_DEP_1) | instskip(NEXT) | instid1(VALU_DEP_1)
	v_fma_f16 v171, v125, 0xbbdd, -v169
	v_add_f16_e64 v54, v171, v54
	v_mul_f16_e64 v171, 0x3964, v110
	s_delay_alu instid0(VALU_DEP_1) | instskip(SKIP_1) | instid1(VALU_DEP_1)
	v_fma_f16 v172, v27, 0x39e9, -v171
	v_fmac_f16_e64 v171, 0x39e9, v27
	v_add_f16_e64 v166, v171, v166
	v_mul_f16_e64 v171, 0x3bf7, v25
	s_delay_alu instid0(VALU_DEP_1) | instskip(NEXT) | instid1(VALU_DEP_1)
	v_fma_f16 v173, v122, 0x2de8, -v171
	v_add_f16_e64 v54, v173, v54
	v_mul_f16_e64 v173, 0xbbf7, v21
	s_delay_alu instid0(VALU_DEP_1) | instskip(SKIP_1) | instid1(VALU_DEP_2)
	v_fma_f16 v174, v123, 0x2de8, -v173
	v_fma_f16 v134, 0x2de8, v123, v173
	v_add_f16_e64 v174, v97, v174
	s_delay_alu instid0(VALU_DEP_2) | instskip(NEXT) | instid1(VALU_DEP_2)
	v_add_f16_e64 v134, v97, v134
	v_add_f16_e64 v174, v176, v174
	v_mul_f16_e64 v176, 0xbb29, v108
	s_delay_alu instid0(VALU_DEP_3) | instskip(NEXT) | instid1(VALU_DEP_2)
	v_add_f16_e64 v134, v136, v134
	v_fma_f16 v177, v22, 0x3722, -v176
	v_fmac_f16_e64 v176, 0x3722, v22
	s_delay_alu instid0(VALU_DEP_1) | instskip(SKIP_1) | instid1(VALU_DEP_1)
	v_add_f16_e64 v166, v176, v166
	v_mul_f16_e64 v176, 0xb5c8, v115
	v_fma_f16 v178, v119, 0x3b76, -v176
	s_delay_alu instid0(VALU_DEP_1) | instskip(SKIP_1) | instid1(VALU_DEP_1)
	v_add_f16_e64 v54, v178, v54
	v_mul_f16_e64 v178, 0x3bb2, v29
	v_fma_f16 v179, v127, 0xb461, -v178
	v_fma_f16 v136, 0xb461, v127, v178
	s_delay_alu instid0(VALU_DEP_2) | instskip(SKIP_1) | instid1(VALU_DEP_3)
	v_add_f16_e64 v174, v179, v174
	v_mul_f16_e64 v179, 0xb1e1, v105
	v_add_f16_e64 v134, v136, v134
	s_delay_alu instid0(VALU_DEP_2) | instskip(SKIP_1) | instid1(VALU_DEP_1)
	v_fma_f16 v180, v28, 0xbbdd, -v179
	v_fmac_f16_e64 v179, 0xbbdd, v28
	v_add_f16_e64 v166, v179, v166
	v_mul_f16_e64 v179, 0xba62, v113
	s_delay_alu instid0(VALU_DEP_1) | instskip(NEXT) | instid1(VALU_DEP_1)
	v_fma_f16 v181, v117, 0xb8d2, -v179
	v_add_f16_e64 v54, v181, v54
	v_mul_f16_e64 v181, 0x35c8, v26
	s_delay_alu instid0(VALU_DEP_1) | instskip(SKIP_1) | instid1(VALU_DEP_2)
	v_fma_f16 v182, v126, 0x3b76, -v181
	v_fma_f16 v137, 0x3b76, v126, v181
	v_add_f16_e64 v174, v182, v174
	v_mul_f16_e64 v182, 0x3bf7, v104
	s_delay_alu instid0(VALU_DEP_3) | instskip(NEXT) | instid1(VALU_DEP_2)
	v_add_f16_e64 v134, v137, v134
	v_fma_f16 v183, v24, 0x2de8, -v182
	v_fmac_f16_e64 v182, 0x2de8, v24
	s_delay_alu instid0(VALU_DEP_1) | instskip(SKIP_1) | instid1(VALU_DEP_1)
	v_add_f16_e64 v166, v182, v166
	v_mul_f16_e64 v182, 0xbb29, v31
	v_fma_f16 v184, v125, 0x3722, -v182
	v_fma_f16 v137, 0x3722, v125, v182
	s_delay_alu instid0(VALU_DEP_2) | instskip(SKIP_1) | instid1(VALU_DEP_3)
	v_add_f16_e64 v174, v184, v174
	v_mul_f16_e64 v184, 0xb5c8, v107
	v_add_f16_e64 v134, v137, v134
	s_delay_alu instid0(VALU_DEP_2) | instskip(SKIP_1) | instid1(VALU_DEP_1)
	v_fma_f16 v185, v114, 0x3b76, -v184
	v_fmac_f16_e64 v184, 0x3b76, v114
	v_add_f16_e64 v166, v184, v166
	v_mul_f16_e64 v184, 0xbbf7, v129
	s_delay_alu instid0(VALU_DEP_1) | instskip(SKIP_1) | instid1(VALU_DEP_2)
	v_fma_f16 v186, v23, 0x2de8, -v184
	v_fmac_f16_e64 v184, 0x2de8, v23
	v_add_f16_e64 v136, v96, v186
	s_delay_alu instid0(VALU_DEP_2) | instskip(NEXT) | instid1(VALU_DEP_2)
	v_add_f16_e64 v184, v96, v184
	v_add_f16_e64 v136, v188, v136
	s_delay_alu instid0(VALU_DEP_2) | instskip(SKIP_1) | instid1(VALU_DEP_1)
	v_add_f16_e64 v184, v187, v184
	v_mul_f16_e64 v187, 0xb836, v25
	v_fma_f16 v189, v122, 0xbacd, -v187
	v_fma_f16 v137, 0xbacd, v122, v187
	s_delay_alu instid0(VALU_DEP_2) | instskip(SKIP_1) | instid1(VALU_DEP_3)
	v_add_f16_e64 v174, v189, v174
	v_mul_f16_e64 v189, 0xba62, v128
	v_add_f16_e64 v134, v137, v134
	s_delay_alu instid0(VALU_DEP_2) | instskip(SKIP_1) | instid1(VALU_DEP_1)
	v_fma_f16 v190, v30, 0xb8d2, -v189
	v_fmac_f16_e64 v189, 0xb8d2, v30
	v_add_f16_e64 v166, v189, v166
	v_mul_f16_e64 v189, 0x3bb2, v110
	s_delay_alu instid0(VALU_DEP_2) | instskip(NEXT) | instid1(VALU_DEP_2)
	v_pack_b32_f16 v54, v166, v54
	v_fma_f16 v191, v27, 0xb461, -v189
	v_fmac_f16_e64 v189, 0xb461, v27
	s_delay_alu instid0(VALU_DEP_2) | instskip(NEXT) | instid1(VALU_DEP_2)
	v_add_f16_e64 v136, v191, v136
	v_add_f16_e64 v184, v189, v184
	v_mul_f16_e64 v189, 0x3a62, v115
	s_delay_alu instid0(VALU_DEP_1) | instskip(SKIP_1) | instid1(VALU_DEP_2)
	v_fma_f16 v192, v119, 0xb8d2, -v189
	v_fma_f16 v137, 0xb8d2, v119, v189
	v_add_f16_e64 v174, v192, v174
	v_mul_f16_e64 v192, 0x35c8, v108
	s_delay_alu instid0(VALU_DEP_3) | instskip(NEXT) | instid1(VALU_DEP_2)
	v_add_f16_e64 v134, v137, v134
	v_fma_f16 v193, v22, 0x3b76, -v192
	v_fmac_f16_e64 v192, 0x3b76, v22
	s_delay_alu instid0(VALU_DEP_2) | instskip(NEXT) | instid1(VALU_DEP_2)
	v_add_f16_e64 v136, v193, v136
	v_add_f16_e64 v184, v192, v184
	v_mul_f16_e64 v192, 0x3964, v113
	s_delay_alu instid0(VALU_DEP_1) | instskip(SKIP_1) | instid1(VALU_DEP_2)
	v_fma_f16 v194, v117, 0x39e9, -v192
	v_fma_f16 v137, 0x39e9, v117, v192
	v_add_f16_e64 v174, v194, v174
	v_mul_f16_e64 v194, 0xbb29, v105
	s_delay_alu instid0(VALU_DEP_3) | instskip(SKIP_1) | instid1(VALU_DEP_3)
	v_add_f16_e64 v134, v137, v134
	v_fma_f16 v137, 0x3722, v126, v153
	v_fma_f16 v195, v28, 0x3722, -v194
	v_fmac_f16_e64 v194, 0x3722, v28
	s_delay_alu instid0(VALU_DEP_2) | instskip(NEXT) | instid1(VALU_DEP_2)
	v_add_f16_e64 v136, v195, v136
	v_add_f16_e64 v184, v194, v184
	v_mul_f16_e64 v194, 0xb836, v104
	s_delay_alu instid0(VALU_DEP_1) | instskip(SKIP_1) | instid1(VALU_DEP_2)
	v_fma_f16 v196, v24, 0xbacd, -v194
	v_fmac_f16_e64 v194, 0xbacd, v24
	v_add_f16_e64 v136, v196, v136
	s_delay_alu instid0(VALU_DEP_2) | instskip(SKIP_1) | instid1(VALU_DEP_1)
	v_add_f16_e64 v184, v194, v184
	v_mul_f16_e64 v194, 0x3a62, v107
	v_fma_f16 v197, v114, 0xb8d2, -v194
	v_fmac_f16_e64 v194, 0xb8d2, v114
	s_delay_alu instid0(VALU_DEP_2) | instskip(NEXT) | instid1(VALU_DEP_2)
	v_add_f16_e64 v135, v197, v136
	v_add_f16_e64 v184, v194, v184
	v_mul_f16_e64 v194, 0x3964, v128
	v_fma_f16 v136, 0x39e9, v127, v146
	s_delay_alu instid0(VALU_DEP_2) | instskip(SKIP_1) | instid1(VALU_DEP_3)
	v_fma_f16 v198, v30, 0x39e9, -v194
	v_fmac_f16_e64 v194, 0x39e9, v30
	v_add_f16_e64 v53, v136, v53
	v_add_f16_e64 v136, v96, v168
	s_delay_alu instid0(VALU_DEP_4) | instskip(NEXT) | instid1(VALU_DEP_4)
	v_add_f16_e64 v135, v198, v135
	v_add_f16_e64 v184, v194, v184
	s_delay_alu instid0(VALU_DEP_4) | instskip(SKIP_2) | instid1(VALU_DEP_4)
	v_add_f16_e64 v53, v137, v53
	v_fma_f16 v137, 0xbbdd, v125, v169
	v_add_f16_e64 v136, v170, v136
	v_pack_b32_f16 v166, v184, v174
	v_mul_f16_e64 v174, 0x3b29, v20
	s_delay_alu instid0(VALU_DEP_4) | instskip(SKIP_2) | instid1(VALU_DEP_4)
	v_add_f16_e64 v53, v137, v53
	v_fma_f16 v137, 0x2de8, v122, v171
	v_add_f16_e64 v136, v172, v136
	v_fma_f16 v184, v124, 0x3722, -v174
	s_delay_alu instid0(VALU_DEP_3) | instskip(SKIP_1) | instid1(VALU_DEP_4)
	v_add_f16_e64 v53, v137, v53
	v_fma_f16 v137, 0x3b76, v119, v176
	v_add_f16_e64 v136, v177, v136
	s_delay_alu instid0(VALU_DEP_4) | instskip(SKIP_1) | instid1(VALU_DEP_4)
	v_add_f16_e64 v132, v184, v132
	v_mul_f16_e64 v184, 0xbbf7, v29
	v_add_f16_e64 v53, v137, v53
	v_fma_f16 v137, 0xb8d2, v117, v179
	v_add_f16_e64 v136, v180, v136
	s_delay_alu instid0(VALU_DEP_4) | instskip(NEXT) | instid1(VALU_DEP_3)
	v_fma_f16 v194, v127, 0x2de8, -v184
	v_add_f16_e64 v53, v137, v53
	s_delay_alu instid0(VALU_DEP_3) | instskip(NEXT) | instid1(VALU_DEP_3)
	v_add_f16_e64 v136, v183, v136
	v_add_f16_e64 v132, v194, v132
	v_mul_f16_e64 v194, 0x3a62, v26
	s_delay_alu instid0(VALU_DEP_3) | instskip(NEXT) | instid1(VALU_DEP_2)
	v_add_f16_e64 v136, v185, v136
	v_fma_f16 v199, v126, 0xb8d2, -v194
	v_fma_f16 v140, 0xb8d2, v126, v194
	s_delay_alu instid0(VALU_DEP_3) | instskip(NEXT) | instid1(VALU_DEP_3)
	v_add_f16_e64 v136, v190, v136
	v_add_f16_e64 v132, v199, v132
	v_mul_f16_e64 v199, 0xb5c8, v31
	s_delay_alu instid0(VALU_DEP_1) | instskip(NEXT) | instid1(VALU_DEP_1)
	v_fma_f16 v200, v125, 0x3b76, -v199
	v_add_f16_e64 v132, v200, v132
	v_mul_f16_e64 v200, 0xb836, v129
	s_delay_alu instid0(VALU_DEP_1) | instskip(SKIP_1) | instid1(VALU_DEP_1)
	v_fma_f16 v201, v23, 0xbacd, -v200
	v_fmac_f16_e64 v200, 0xbacd, v23
	v_add_f16_e64 v200, v96, v200
	s_delay_alu instid0(VALU_DEP_1) | instskip(SKIP_1) | instid1(VALU_DEP_1)
	v_add_f16_e64 v200, v202, v200
	v_mul_f16_e64 v202, 0xb1e1, v25
	v_fma_f16 v204, v122, 0xbbdd, -v202
	s_delay_alu instid0(VALU_DEP_1) | instskip(SKIP_1) | instid1(VALU_DEP_1)
	v_add_f16_e64 v132, v204, v132
	v_mul_f16_e64 v204, 0xbbf7, v110
	v_fma_f16 v205, v27, 0x2de8, -v204
	v_fmac_f16_e64 v204, 0x2de8, v27
	s_delay_alu instid0(VALU_DEP_1) | instskip(SKIP_1) | instid1(VALU_DEP_1)
	v_add_f16_e64 v200, v204, v200
	v_mul_f16_e64 v204, 0x3964, v115
	v_fma_f16 v206, v119, 0x39e9, -v204
	s_delay_alu instid0(VALU_DEP_1) | instskip(SKIP_1) | instid1(VALU_DEP_1)
	v_add_f16_e64 v132, v206, v132
	v_mul_f16_e64 v206, 0x3a62, v108
	v_fma_f16 v207, v22, 0xb8d2, -v206
	v_fmac_f16_e64 v206, 0xb8d2, v22
	s_delay_alu instid0(VALU_DEP_1) | instskip(SKIP_1) | instid1(VALU_DEP_1)
	v_add_f16_e64 v200, v206, v200
	v_mul_f16_e64 v206, 0xbbb2, v113
	v_fma_f16 v208, v117, 0xb461, -v206
	s_delay_alu instid0(VALU_DEP_1) | instskip(SKIP_1) | instid1(VALU_DEP_1)
	v_add_f16_e64 v132, v208, v132
	v_mul_f16_e64 v208, 0xba62, v21
	v_fma_f16 v209, v123, 0xb8d2, -v208
	v_fma_f16 v137, 0xb8d2, v123, v208
	s_delay_alu instid0(VALU_DEP_2) | instskip(NEXT) | instid1(VALU_DEP_2)
	v_add_f16_e64 v209, v97, v209
	v_add_f16_e64 v137, v97, v137
	s_delay_alu instid0(VALU_DEP_2) | instskip(SKIP_1) | instid1(VALU_DEP_3)
	v_add_f16_e64 v209, v211, v209
	v_mul_f16_e64 v211, 0xb5c8, v105
	v_add_f16_e64 v137, v138, v137
	s_delay_alu instid0(VALU_DEP_2) | instskip(SKIP_1) | instid1(VALU_DEP_1)
	v_fma_f16 v212, v28, 0x3b76, -v211
	v_fmac_f16_e64 v211, 0x3b76, v28
	v_add_f16_e64 v200, v211, v200
	v_mul_f16_e64 v211, 0xb5c8, v29
	s_delay_alu instid0(VALU_DEP_1) | instskip(SKIP_1) | instid1(VALU_DEP_2)
	v_fma_f16 v213, v127, 0x3b76, -v211
	v_fma_f16 v138, 0x3b76, v127, v211
	v_add_f16_e64 v209, v213, v209
	v_mul_f16_e64 v213, 0xb1e1, v104
	s_delay_alu instid0(VALU_DEP_3) | instskip(NEXT) | instid1(VALU_DEP_2)
	v_add_f16_e64 v137, v138, v137
	v_fma_f16 v214, v24, 0xbbdd, -v213
	v_fmac_f16_e64 v213, 0xbbdd, v24
	s_delay_alu instid0(VALU_DEP_1) | instskip(SKIP_2) | instid1(VALU_DEP_2)
	v_add_f16_e64 v200, v213, v200
	v_mul_f16_e64 v213, 0xba62, v129
	v_mul_f16_e64 v129, 0xb1e1, v129
	v_fma_f16 v215, v23, 0xb8d2, -v213
	v_fmac_f16_e64 v213, 0xb8d2, v23
	s_delay_alu instid0(VALU_DEP_2) | instskip(NEXT) | instid1(VALU_DEP_2)
	v_add_f16_e64 v138, v96, v215
	v_add_f16_e64 v213, v96, v213
	s_delay_alu instid0(VALU_DEP_2) | instskip(NEXT) | instid1(VALU_DEP_2)
	v_add_f16_e64 v138, v217, v138
	v_add_f16_e64 v213, v216, v213
	v_mul_f16_e64 v216, 0xb836, v26
	s_delay_alu instid0(VALU_DEP_1) | instskip(SKIP_1) | instid1(VALU_DEP_2)
	v_fma_f16 v218, v126, 0xbacd, -v216
	v_fma_f16 v139, 0xbacd, v126, v216
	v_add_f16_e64 v209, v218, v209
	v_mul_f16_e64 v218, 0x3964, v107
	s_delay_alu instid0(VALU_DEP_3) | instskip(NEXT) | instid1(VALU_DEP_2)
	v_add_f16_e64 v137, v139, v137
	v_fma_f16 v219, v114, 0x39e9, -v218
	v_fmac_f16_e64 v218, 0x39e9, v114
	s_delay_alu instid0(VALU_DEP_1) | instskip(SKIP_2) | instid1(VALU_DEP_2)
	v_add_f16_e64 v200, v218, v200
	v_mul_f16_e64 v218, 0xb5c8, v110
	v_mul_f16_e32 v110, 0xb836, v110
	v_fma_f16 v220, v27, 0x3b76, -v218
	v_fmac_f16_e64 v218, 0x3b76, v27
	s_delay_alu instid0(VALU_DEP_2) | instskip(NEXT) | instid1(VALU_DEP_2)
	v_add_f16_e64 v138, v220, v138
	v_add_f16_e64 v213, v218, v213
	v_mul_f16_e64 v218, 0x3bf7, v31
	s_delay_alu instid0(VALU_DEP_1) | instskip(SKIP_1) | instid1(VALU_DEP_2)
	v_fma_f16 v221, v125, 0x2de8, -v218
	v_fma_f16 v139, 0x2de8, v125, v218
	v_add_f16_e64 v209, v221, v209
	v_mul_f16_e64 v221, 0xbbb2, v128
	s_delay_alu instid0(VALU_DEP_3) | instskip(NEXT) | instid1(VALU_DEP_2)
	v_add_f16_e64 v137, v139, v137
	v_fma_f16 v222, v30, 0xb461, -v221
	v_fmac_f16_e64 v221, 0xb461, v30
	s_delay_alu instid0(VALU_DEP_1) | instskip(SKIP_2) | instid1(VALU_DEP_3)
	v_add_f16_e64 v200, v221, v200
	v_mul_f16_e64 v221, 0xb836, v108
	v_mul_f16_e32 v108, 0x3964, v108
	v_pack_b32_f16 v132, v200, v132
	s_delay_alu instid0(VALU_DEP_3) | instskip(SKIP_1) | instid1(VALU_DEP_2)
	v_fma_f16 v223, v22, 0xbacd, -v221
	v_fmac_f16_e64 v221, 0xbacd, v22
	v_add_f16_e64 v138, v223, v138
	s_delay_alu instid0(VALU_DEP_2) | instskip(SKIP_1) | instid1(VALU_DEP_1)
	v_add_f16_e64 v213, v221, v213
	v_mul_f16_e64 v221, 0xb964, v25
	v_fma_f16 v224, v122, 0x39e9, -v221
	v_fma_f16 v139, 0x39e9, v122, v221
	s_delay_alu instid0(VALU_DEP_2) | instskip(SKIP_1) | instid1(VALU_DEP_3)
	v_add_f16_e64 v209, v224, v209
	v_mul_f16_e64 v224, 0x3bf7, v105
	v_add_f16_e64 v137, v139, v137
	v_mul_f16_e32 v105, 0xba62, v105
	s_delay_alu instid0(VALU_DEP_3) | instskip(SKIP_1) | instid1(VALU_DEP_2)
	v_fma_f16 v225, v28, 0x2de8, -v224
	v_fmac_f16_e64 v224, 0x2de8, v28
	v_add_f16_e64 v138, v225, v138
	s_delay_alu instid0(VALU_DEP_2) | instskip(SKIP_1) | instid1(VALU_DEP_1)
	v_add_f16_e64 v213, v224, v213
	v_mul_f16_e64 v224, 0xb1e1, v115
	v_fma_f16 v226, v119, 0xbbdd, -v224
	v_fma_f16 v139, 0xbbdd, v119, v224
	s_delay_alu instid0(VALU_DEP_2) | instskip(SKIP_1) | instid1(VALU_DEP_3)
	v_add_f16_e64 v209, v226, v209
	v_mul_f16_e64 v226, 0xb964, v104
	v_add_f16_e64 v137, v139, v137
	v_mul_f16_e32 v104, 0x3b29, v104
	s_delay_alu instid0(VALU_DEP_3) | instskip(SKIP_1) | instid1(VALU_DEP_2)
	v_fma_f16 v227, v24, 0x39e9, -v226
	v_fmac_f16_e64 v226, 0x39e9, v24
	v_add_f16_e64 v138, v227, v138
	s_delay_alu instid0(VALU_DEP_2) | instskip(SKIP_1) | instid1(VALU_DEP_1)
	v_add_f16_e64 v213, v226, v213
	v_mul_f16_e64 v226, 0x3b29, v113
	v_fma_f16 v228, v117, 0x3722, -v226
	v_fma_f16 v139, 0x3722, v117, v226
	s_delay_alu instid0(VALU_DEP_2) | instskip(SKIP_1) | instid1(VALU_DEP_3)
	v_add_f16_e64 v209, v228, v209
	v_mul_f16_e64 v228, 0xb1e1, v107
	v_add_f16_e64 v137, v139, v137
	v_fma_f16 v139, 0x3722, v124, v174
	v_mul_f16_e32 v107, 0xbbb2, v107
	s_delay_alu instid0(VALU_DEP_4) | instskip(SKIP_1) | instid1(VALU_DEP_4)
	v_fma_f16 v229, v114, 0xbbdd, -v228
	v_fmac_f16_e64 v228, 0xbbdd, v114
	v_add_f16_e64 v131, v139, v131
	v_fma_f16 v139, 0x2de8, v127, v184
	s_delay_alu instid0(VALU_DEP_4) | instskip(NEXT) | instid1(VALU_DEP_4)
	v_add_f16_e64 v138, v229, v138
	v_add_f16_e64 v213, v228, v213
	v_mul_f16_e64 v228, 0x3b29, v128
	s_delay_alu instid0(VALU_DEP_4) | instskip(SKIP_1) | instid1(VALU_DEP_3)
	v_add_f16_e64 v131, v139, v131
	v_add_f16_e64 v139, v96, v201
	v_fma_f16 v230, v30, 0x3722, -v228
	v_fmac_f16_e64 v228, 0x3722, v30
	s_delay_alu instid0(VALU_DEP_4) | instskip(SKIP_4) | instid1(VALU_DEP_4)
	v_add_f16_e64 v131, v140, v131
	v_fma_f16 v140, 0x3b76, v125, v199
	v_add_f16_e64 v139, v203, v139
	v_add_f16_e64 v138, v230, v138
	;; [unrolled: 1-line block ×4, first 2 shown]
	v_fma_f16 v140, 0xbbdd, v122, v202
	v_add_f16_e64 v139, v205, v139
	s_delay_alu instid0(VALU_DEP_4)
	v_pack_b32_f16 v200, v213, v209
	ds_store_2addr_b32 v52, v166, v54 offset0:4 offset1:5
	ds_store_2addr_b32 v52, v200, v132 offset0:6 offset1:7
	v_fma_f16 v54, 0x39e9, v123, v145
	v_add_f16_e64 v131, v140, v131
	v_fma_f16 v140, 0x39e9, v119, v204
	v_fma_f16 v132, 0x2de8, v124, v147
	;; [unrolled: 1-line block ×3, first 2 shown]
	v_add_f16_e32 v54, v97, v54
	v_fma_f16 v147, v18, 0x3b76, -v130
	v_add_f16_e64 v131, v140, v131
	v_fma_f16 v140, 0xb461, v117, v206
	v_fma_f16 v124, v124, 0x3b76, -v142
	v_add_f16_e64 v54, v132, v54
	v_fma_f16 v132, 0xb8d2, v127, v150
	v_fmac_f16_e64 v130, 0x3b76, v18
	v_add_f16_e64 v131, v140, v131
	v_mul_f16_e64 v140, 0xb1e1, v21
	v_fma_f16 v21, v23, 0x3b76, -v121
	v_add_f16_e64 v54, v132, v54
	v_add_f16_e64 v132, v96, v155
	v_fma_f16 v18, v18, 0x39e9, -v120
	v_fma_f16 v141, 0xbbdd, v123, v140
	v_fma_f16 v123, v123, 0xbbdd, -v140
	v_add_f16_e64 v54, v145, v54
	v_fma_f16 v145, 0xbacd, v125, v156
	v_add_f16_e32 v21, v96, v21
	v_add_f16_e64 v141, v97, v141
	v_add_f16_e32 v123, v97, v123
	v_add_f16_e32 v97, v97, v116
	v_add_f16_e64 v54, v145, v54
	v_fma_f16 v145, 0xb461, v122, v158
	v_add_f16_e64 v141, v143, v141
	v_mul_f16_e64 v143, 0xb836, v29
	v_add_f16_e32 v123, v124, v123
	v_add_f16_e64 v132, v157, v132
	v_add_f16_e64 v54, v145, v54
	v_fma_f16 v145, 0x3722, v119, v160
	v_fma_f16 v144, 0xbacd, v127, v143
	v_fma_f16 v124, v127, 0xbacd, -v143
	v_add_f16_e32 v19, v19, v97
	v_add_f16_e32 v18, v18, v21
	v_add_f16_e64 v54, v145, v54
	v_fma_f16 v145, 0x3b76, v117, v163
	v_add_f16_e64 v141, v144, v141
	v_mul_f16_e64 v144, 0x3964, v26
	v_fma_f16 v21, v27, 0x3722, -v106
	v_fma_f16 v140, v22, 0x39e9, -v108
	v_add_f16_e64 v54, v145, v54
	v_add_f16_e32 v123, v124, v123
	v_fma_f16 v145, 0x39e9, v126, v144
	v_fma_f16 v124, v126, 0x39e9, -v144
	v_fmac_f16_e32 v108, 0x39e9, v22
	v_add_f16_e64 v132, v159, v132
	v_add_f16_e32 v19, v118, v19
	v_add_f16_e64 v141, v145, v141
	v_mul_f16_e64 v145, 0xba62, v31
	v_add_f16_e32 v18, v21, v18
	v_fma_f16 v21, v22, 0x2de8, -v103
	v_fma_f16 v142, v28, 0xb8d2, -v105
	v_add_f16_e32 v123, v124, v123
	v_fma_f16 v146, 0xb8d2, v125, v145
	v_fma_f16 v124, v125, 0xb8d2, -v145
	v_fmac_f16_e32 v105, 0xb8d2, v28
	v_add_f16_e64 v139, v207, v139
	v_add_f16_e64 v132, v161, v132
	;; [unrolled: 1-line block ×3, first 2 shown]
	v_fma_f16 v146, v23, 0xbbdd, -v129
	v_fmac_f16_e64 v129, 0xbbdd, v23
	v_add_f16_e32 v19, v112, v19
	v_add_f16_e32 v18, v21, v18
	v_fma_f16 v21, v28, 0xb461, -v102
	v_add_f16_e64 v146, v96, v146
	v_add_f16_e64 v20, v96, v129
	v_fma_f16 v127, v24, 0x3722, -v104
	v_add_f16_e32 v96, v124, v123
	v_fmac_f16_e32 v104, 0x3722, v24
	v_add_f16_e64 v146, v147, v146
	v_mul_f16_e64 v147, 0x3b29, v25
	v_add_f16_e64 v20, v130, v20
	v_add_f16_e64 v139, v212, v139
	;; [unrolled: 1-line block ×3, first 2 shown]
	v_add_f16_e32 v19, v111, v19
	v_fma_f16 v148, 0x3722, v122, v147
	v_add_f16_e32 v18, v21, v18
	v_fma_f16 v21, v24, 0xb8d2, -v100
	v_fma_f16 v126, v114, 0xb461, -v107
	v_mul_f16_e64 v23, 0x3bf7, v128
	v_add_f16_e64 v141, v148, v141
	v_fma_f16 v148, v27, 0xbacd, -v110
	v_fmac_f16_e32 v110, 0xbacd, v27
	v_fma_f16 v27, v122, 0x3722, -v147
	v_fmac_f16_e32 v107, 0xb461, v114
	v_add_f16_e64 v139, v214, v139
	v_add_f16_e64 v146, v148, v146
	v_add_f16_e32 v20, v110, v20
	v_mul_f16_e64 v148, 0xbbb2, v115
	v_add_f16_e32 v22, v27, v96
	v_add_f16_e64 v132, v164, v132
	v_add_f16_e64 v140, v140, v146
	v_add_f16_e32 v20, v108, v20
	v_fma_f16 v149, 0xb461, v119, v148
	v_fma_f16 v26, v119, 0xb461, -v148
	v_add_f16_e32 v17, v17, v19
	v_add_f16_e64 v140, v142, v140
	v_add_f16_e32 v20, v105, v20
	v_mul_f16_e64 v142, 0x3bf7, v113
	v_add_f16_e32 v18, v21, v18
	v_fma_f16 v19, v114, 0xbacd, -v99
	v_add_f16_e64 v127, v127, v140
	v_add_f16_e32 v20, v104, v20
	v_add_f16_e64 v141, v149, v141
	v_fma_f16 v146, 0x2de8, v117, v142
	v_fma_f16 v121, v30, 0x2de8, -v23
	v_add_f16_e32 v126, v126, v127
	v_add_f16_e32 v22, v26, v22
	v_fma_f16 v21, v117, 0x2de8, -v142
	v_add_f16_e32 v20, v107, v20
	v_fmac_f16_e32 v23, 0x2de8, v30
	v_add_f16_e64 v139, v219, v139
	v_add_f16_e64 v132, v165, v132
	v_add_f16_e32 v16, v16, v17
	v_add_f16_e32 v17, v19, v18
	v_fma_f16 v18, v30, 0xbbdd, -v98
	v_add_f16_e64 v141, v146, v141
	v_add_f16_e32 v121, v121, v126
	v_add_f16_e32 v19, v21, v22
	;; [unrolled: 1-line block ×3, first 2 shown]
	v_add_f16_e64 v21, v222, v139
	v_add_f16_e64 v132, v167, v132
	v_add_f16_e32 v16, v101, v16
	v_add_f16_e32 v17, v18, v17
	v_pack_b32_f16 v18, v121, v141
	v_pack_b32_f16 v19, v20, v19
	;; [unrolled: 1-line block ×9, first 2 shown]
	ds_store_2addr_b32 v52, v19, v18 offset0:8 offset1:9
	ds_store_2addr_b32 v52, v21, v20 offset0:10 offset1:11
	;; [unrolled: 1-line block ×4, first 2 shown]
	ds_store_b32 v52, v16 offset:64
.LBB0_13:
	s_wait_alu 0xfffe
	s_or_b32 exec_lo, exec_lo, s0
	v_add_nc_u32_e32 v52, 0x400, v55
	global_wb scope:SCOPE_SE
	s_wait_dscnt 0x0
	s_barrier_signal -1
	s_barrier_wait -1
	global_inv scope:SCOPE_SE
	ds_load_2addr_b32 v[16:17], v55 offset1:34
	ds_load_2addr_b32 v[18:19], v55 offset0:68 offset1:102
	ds_load_2addr_b32 v[20:21], v55 offset0:136 offset1:170
	;; [unrolled: 1-line block ×7, first 2 shown]
	global_wb scope:SCOPE_SE
	s_wait_dscnt 0x0
	s_barrier_signal -1
	s_barrier_wait -1
	global_inv scope:SCOPE_SE
	v_lshrrev_b32_e32 v98, 16, v20
	v_lshrrev_b32_e32 v99, 16, v21
	;; [unrolled: 1-line block ×5, first 2 shown]
	v_mul_f16_e32 v109, v78, v24
	v_lshrrev_b32_e32 v105, 16, v27
	v_mul_f16_e32 v78, v78, v102
	v_mul_f16_e32 v111, v80, v25
	;; [unrolled: 1-line block ×3, first 2 shown]
	v_fma_f16 v102, v61, v102, -v109
	v_mul_f16_e32 v109, v79, v104
	v_lshrrev_b32_e32 v106, 16, v28
	v_lshrrev_b32_e32 v107, 16, v29
	v_fmac_f16_e32 v78, v61, v24
	v_mul_f16_e32 v24, v79, v26
	v_fmac_f16_e32 v80, v63, v25
	v_mul_f16_e32 v25, v77, v105
	v_fmac_f16_e32 v109, v62, v26
	v_mul_f16_e32 v26, v77, v27
	v_lshrrev_b32_e32 v108, 16, v30
	v_lshrrev_b32_e32 v110, 16, v31
	v_fma_f16 v61, v63, v103, -v111
	v_fma_f16 v24, v62, v104, -v24
	v_fmac_f16_e32 v25, v60, v27
	v_mul_f16_e32 v27, v76, v106
	v_mul_f16_e32 v62, v76, v28
	;; [unrolled: 1-line block ×3, first 2 shown]
	v_fma_f16 v26, v60, v105, -v26
	v_mul_f16_e32 v60, v75, v29
	v_lshrrev_b32_e32 v53, 16, v16
	v_fmac_f16_e32 v27, v59, v28
	v_fma_f16 v28, v59, v106, -v62
	v_fmac_f16_e32 v63, v58, v29
	v_mul_f16_e32 v29, v74, v108
	v_fma_f16 v58, v58, v107, -v60
	v_mul_f16_e32 v60, v73, v110
	v_mul_f16_e32 v62, v73, v31
	v_lshrrev_b32_e32 v54, 16, v17
	v_mul_f16_e32 v59, v74, v30
	v_lshrrev_b32_e32 v96, 16, v18
	v_lshrrev_b32_e32 v97, 16, v19
	v_fmac_f16_e32 v29, v57, v30
	v_sub_f16_e32 v30, v16, v78
	v_fmac_f16_e32 v60, v56, v31
	v_fma_f16 v31, v56, v110, -v62
	v_sub_f16_e32 v56, v53, v102
	v_fma_f16 v57, v57, v108, -v59
	v_sub_f16_e32 v59, v17, v80
	v_sub_f16_e32 v61, v54, v61
	;; [unrolled: 1-line block ×4, first 2 shown]
	v_lshrrev_b32_e32 v100, 16, v22
	v_lshrrev_b32_e32 v101, 16, v23
	v_fma_f16 v16, v16, 2.0, -v30
	v_fma_f16 v53, v53, 2.0, -v56
	v_sub_f16_e32 v25, v19, v25
	v_sub_f16_e32 v26, v97, v26
	v_fma_f16 v17, v17, 2.0, -v59
	v_fma_f16 v54, v54, 2.0, -v61
	v_sub_f16_e32 v27, v20, v27
	v_sub_f16_e32 v28, v98, v28
	v_fma_f16 v18, v18, 2.0, -v62
	v_fma_f16 v73, v96, 2.0, -v24
	v_sub_f16_e32 v63, v21, v63
	v_sub_f16_e32 v58, v99, v58
	v_sub_f16_e32 v29, v22, v29
	v_sub_f16_e32 v57, v100, v57
	;; [unrolled: 1-line block ×4, first 2 shown]
	v_fma_f16 v19, v19, 2.0, -v25
	v_fma_f16 v74, v97, 2.0, -v26
	v_pack_b32_f16 v16, v16, v53
	v_pack_b32_f16 v30, v30, v56
	v_fma_f16 v20, v20, 2.0, -v27
	v_fma_f16 v75, v98, 2.0, -v28
	v_pack_b32_f16 v17, v17, v54
	v_pack_b32_f16 v53, v59, v61
	;; [unrolled: 4-line block ×3, first 2 shown]
	v_fma_f16 v22, v22, 2.0, -v29
	v_fma_f16 v77, v100, 2.0, -v57
	;; [unrolled: 1-line block ×4, first 2 shown]
	ds_store_2addr_b32 v65, v16, v30 offset1:17
	ds_store_2addr_b32 v71, v17, v53 offset1:17
	;; [unrolled: 1-line block ×3, first 2 shown]
	v_pack_b32_f16 v16, v19, v74
	v_pack_b32_f16 v17, v25, v26
	;; [unrolled: 1-line block ×10, first 2 shown]
	ds_store_2addr_b32 v66, v16, v17 offset1:17
	ds_store_2addr_b32 v67, v18, v19 offset1:17
	;; [unrolled: 1-line block ×5, first 2 shown]
	global_wb scope:SCOPE_SE
	s_wait_dscnt 0x0
	s_barrier_signal -1
	s_barrier_wait -1
	global_inv scope:SCOPE_SE
	ds_load_2addr_b32 v[16:17], v55 offset1:34
	ds_load_2addr_b32 v[18:19], v55 offset0:68 offset1:102
	ds_load_2addr_b32 v[20:21], v55 offset0:136 offset1:170
	;; [unrolled: 1-line block ×7, first 2 shown]
	s_wait_dscnt 0x7
	v_lshrrev_b32_e32 v53, 16, v17
	s_wait_dscnt 0x6
	v_lshrrev_b32_e32 v54, 16, v18
	v_lshrrev_b32_e32 v55, 16, v19
	s_wait_dscnt 0x5
	v_lshrrev_b32_e32 v56, 16, v20
	v_mul_f16_e32 v70, v95, v17
	v_mul_f16_e32 v67, v95, v53
	;; [unrolled: 1-line block ×4, first 2 shown]
	v_lshrrev_b32_e32 v57, 16, v21
	s_wait_dscnt 0x4
	v_lshrrev_b32_e32 v58, 16, v22
	v_fmac_f16_e32 v67, v8, v17
	v_mul_f16_e32 v17, v94, v18
	v_fmac_f16_e32 v71, v9, v18
	v_mul_f16_e32 v18, v93, v19
	;; [unrolled: 2-line block ×3, first 2 shown]
	v_fma_f16 v9, v9, v54, -v17
	v_mul_f16_e32 v17, v92, v56
	v_lshrrev_b32_e32 v59, 16, v23
	s_wait_dscnt 0x3
	v_lshrrev_b32_e32 v60, 16, v24
	v_fma_f16 v8, v8, v53, -v70
	v_fma_f16 v10, v10, v55, -v18
	v_mul_f16_e32 v18, v91, v57
	v_mul_f16_e32 v53, v91, v21
	v_fmac_f16_e32 v17, v11, v20
	v_fma_f16 v11, v11, v56, -v19
	v_mul_f16_e32 v19, v90, v58
	v_mul_f16_e32 v20, v90, v22
	v_lshrrev_b32_e32 v61, 16, v25
	s_wait_dscnt 0x2
	v_lshrrev_b32_e32 v62, 16, v26
	v_fmac_f16_e32 v18, v4, v21
	v_fma_f16 v4, v4, v57, -v53
	v_mul_f16_e32 v21, v89, v59
	v_fmac_f16_e32 v19, v5, v22
	v_mul_f16_e32 v22, v89, v23
	v_mul_f16_e32 v53, v88, v60
	v_fma_f16 v5, v5, v58, -v20
	v_mul_f16_e32 v20, v88, v24
	s_wait_dscnt 0x1
	v_lshrrev_b32_e32 v65, 16, v28
	v_fmac_f16_e32 v21, v6, v23
	v_fma_f16 v6, v6, v59, -v22
	v_fmac_f16_e32 v53, v7, v24
	v_mul_f16_e32 v22, v87, v61
	v_fma_f16 v7, v7, v60, -v20
	v_mul_f16_e32 v20, v86, v62
	v_lshrrev_b32_e32 v63, 16, v27
	s_wait_dscnt 0x0
	v_lshrrev_b32_e32 v68, 16, v30
	v_mul_f16_e32 v23, v87, v25
	v_mul_f16_e32 v24, v86, v26
	v_fmac_f16_e32 v22, v0, v25
	v_fmac_f16_e32 v20, v1, v26
	v_mul_f16_e32 v25, v84, v65
	v_mul_f16_e32 v26, v84, v28
	v_lshrrev_b32_e32 v66, 16, v29
	v_fma_f16 v0, v0, v61, -v23
	v_mul_f16_e32 v23, v85, v63
	v_fma_f16 v1, v1, v62, -v24
	v_mul_f16_e32 v24, v85, v27
	v_fmac_f16_e32 v25, v3, v28
	v_fma_f16 v3, v3, v65, -v26
	v_mul_f16_e32 v26, v82, v68
	v_mul_f16_e32 v28, v82, v30
	v_lshrrev_b32_e32 v52, 16, v16
	v_lshrrev_b32_e32 v69, 16, v31
	v_fmac_f16_e32 v23, v2, v27
	v_mul_f16_e32 v27, v83, v66
	v_fma_f16 v2, v2, v63, -v24
	v_mul_f16_e32 v24, v83, v29
	v_fmac_f16_e32 v26, v13, v30
	v_fma_f16 v13, v13, v68, -v28
	v_fmac_f16_e32 v27, v12, v29
	v_mul_f16_e32 v29, v81, v31
	v_fma_f16 v12, v12, v66, -v24
	v_mul_f16_e32 v24, v81, v69
	v_sub_f16_e32 v28, v16, v53
	v_sub_f16_e32 v7, v52, v7
	;; [unrolled: 1-line block ×8, first 2 shown]
	v_fmac_f16_e32 v24, v14, v31
	v_fma_f16 v14, v14, v69, -v29
	v_fma_f16 v16, v16, 2.0, -v28
	v_fma_f16 v29, v52, 2.0, -v7
	;; [unrolled: 1-line block ×8, first 2 shown]
	v_sub_f16_e32 v17, v16, v17
	v_sub_f16_e32 v11, v29, v11
	v_add_f16_e32 v3, v28, v3
	v_sub_f16_e32 v19, v30, v19
	v_sub_f16_e32 v5, v9, v5
	v_add_f16_e32 v13, v20, v13
	v_sub_f16_e32 v22, v67, v22
	v_sub_f16_e32 v0, v8, v0
	;; [unrolled: 1-line block ×9, first 2 shown]
	v_fma_f16 v16, v16, 2.0, -v17
	v_fma_f16 v29, v29, 2.0, -v11
	;; [unrolled: 1-line block ×4, first 2 shown]
	v_sub_f16_e32 v26, v1, v26
	v_fma_f16 v9, v9, 2.0, -v5
	v_fma_f16 v20, v20, 2.0, -v13
	;; [unrolled: 1-line block ×12, first 2 shown]
	v_add_f16_e32 v12, v22, v12
	v_add_f16_e32 v14, v23, v14
	v_sub_f16_e32 v24, v2, v24
	v_fmamk_f16 v53, v20, 0xb9a8, v28
	v_sub_f16_e32 v30, v16, v30
	v_sub_f16_e32 v9, v29, v9
	;; [unrolled: 1-line block ×7, first 2 shown]
	v_fma_f16 v22, v22, 2.0, -v12
	v_fma_f16 v23, v23, 2.0, -v14
	v_fmamk_f16 v54, v1, 0xb9a8, v7
	v_fmac_f16_e32 v53, 0x39a8, v1
	v_fma_f16 v1, v2, 2.0, -v24
	v_fma_f16 v2, v16, 2.0, -v30
	;; [unrolled: 1-line block ×3, first 2 shown]
	v_fmamk_f16 v29, v26, 0x39a8, v25
	v_fma_f16 v31, v31, 2.0, -v18
	v_fma_f16 v8, v8, 2.0, -v4
	;; [unrolled: 1-line block ×5, first 2 shown]
	v_fmac_f16_e32 v54, 0xb9a8, v20
	v_fma_f16 v20, v28, 2.0, -v53
	v_fmamk_f16 v28, v13, 0x39a8, v3
	v_fmac_f16_e32 v29, 0xb9a8, v13
	v_fmamk_f16 v13, v23, 0xb9a8, v22
	v_sub_f16_e32 v10, v8, v10
	v_add_f16_e32 v5, v17, v5
	v_fmac_f16_e32 v28, 0x39a8, v26
	v_sub_f16_e32 v26, v31, v52
	v_fmamk_f16 v52, v1, 0xb9a8, v0
	v_fmac_f16_e32 v13, 0x39a8, v1
	v_sub_f16_e32 v19, v11, v19
	v_fma_f16 v1, v25, 2.0, -v29
	v_fma_f16 v25, v31, 2.0, -v26
	;; [unrolled: 1-line block ×3, first 2 shown]
	v_fmac_f16_e32 v52, 0xb9a8, v23
	v_fma_f16 v22, v22, 2.0, -v13
	v_fmamk_f16 v23, v14, 0x39a8, v12
	v_add_f16_e32 v6, v18, v6
	v_sub_f16_e32 v21, v4, v21
	v_fmamk_f16 v31, v24, 0x39a8, v27
	v_fma_f16 v7, v7, 2.0, -v54
	v_fma_f16 v17, v17, 2.0, -v5
	;; [unrolled: 1-line block ×4, first 2 shown]
	v_fmac_f16_e32 v23, 0x39a8, v24
	v_fma_f16 v18, v18, 2.0, -v6
	v_fma_f16 v4, v4, 2.0, -v21
	v_fmac_f16_e32 v31, 0xb9a8, v14
	v_fmamk_f16 v24, v22, 0xbb64, v20
	v_sub_f16_e32 v8, v16, v8
	v_sub_f16_e32 v14, v2, v25
	v_fmamk_f16 v55, v4, 0xb9a8, v11
	v_fma_f16 v25, v27, 2.0, -v31
	v_fmamk_f16 v27, v0, 0xbb64, v7
	v_fmac_f16_e32 v24, 0x361f, v0
	v_fma_f16 v0, v16, 2.0, -v8
	v_fmamk_f16 v16, v18, 0xb9a8, v17
	v_fma_f16 v3, v3, 2.0, -v28
	v_fma_f16 v12, v12, 2.0, -v23
	v_fmac_f16_e32 v55, 0xb9a8, v18
	v_fmamk_f16 v18, v13, 0x361f, v53
	v_fmac_f16_e32 v16, 0x39a8, v4
	v_fmamk_f16 v4, v25, 0xb61f, v1
	;; [unrolled: 2-line block ×3, first 2 shown]
	v_add_f16_e32 v10, v30, v10
	v_fmac_f16_e32 v18, 0x3b64, v52
	v_fmac_f16_e32 v4, 0xbb64, v12
	v_sub_f16_e32 v12, v9, v26
	v_fmamk_f16 v26, v52, 0x361f, v54
	v_fmamk_f16 v52, v21, 0x39a8, v19
	v_fmac_f16_e32 v22, 0x3b64, v25
	v_fma_f16 v25, v30, 2.0, -v10
	v_fmamk_f16 v30, v6, 0x39a8, v5
	v_fmac_f16_e32 v26, 0xbb64, v13
	v_fmamk_f16 v13, v23, 0x3b64, v28
	v_fmac_f16_e32 v52, 0xb9a8, v6
	;; [unrolled: 2-line block ×3, first 2 shown]
	v_fma_f16 v2, v2, 2.0, -v14
	v_fma_f16 v20, v20, 2.0, -v24
	;; [unrolled: 1-line block ×5, first 2 shown]
	v_fmac_f16_e32 v13, 0x361f, v31
	v_fmac_f16_e32 v6, 0xb61f, v23
	v_fma_f16 v3, v3, 2.0, -v22
	v_fma_f16 v1, v1, 2.0, -v4
	;; [unrolled: 1-line block ×8, first 2 shown]
	v_pack_b32_f16 v0, v2, v0
	v_pack_b32_f16 v2, v20, v7
	;; [unrolled: 1-line block ×3, first 2 shown]
	v_fma_f16 v11, v29, 2.0, -v6
	v_pack_b32_f16 v1, v3, v1
	v_pack_b32_f16 v3, v25, v9
	;; [unrolled: 1-line block ×4, first 2 shown]
	ds_store_b32 v64, v0
	ds_store_2addr_b32 v51, v2, v7 offset0:34 offset1:68
	ds_store_2addr_b32 v51, v1, v3 offset0:102 offset1:136
	;; [unrolled: 1-line block ×3, first 2 shown]
	v_pack_b32_f16 v0, v23, v11
	v_pack_b32_f16 v1, v14, v8
	v_add_nc_u32_e32 v3, 0x200, v51
	v_add_nc_u32_e32 v2, 0x400, v51
	v_pack_b32_f16 v5, v24, v27
	v_pack_b32_f16 v7, v16, v55
	;; [unrolled: 1-line block ×7, first 2 shown]
	ds_store_2addr_b32 v3, v0, v1 offset0:110 offset1:144
	ds_store_2addr_b32 v2, v5, v7 offset0:50 offset1:84
	;; [unrolled: 1-line block ×4, first 2 shown]
	ds_store_b32 v51, v6 offset:2040
	global_wb scope:SCOPE_SE
	s_wait_dscnt 0x0
	s_barrier_signal -1
	s_barrier_wait -1
	global_inv scope:SCOPE_SE
	s_and_b32 exec_lo, exec_lo, vcc_lo
	s_cbranch_execz .LBB0_15
; %bb.14:
	global_load_b32 v0, v33, s[8:9]
	ds_load_b32 v1, v50
	s_mov_b32 s10, 0x1e1e1e1e
	s_mov_b32 s11, 0x3f5e1e1e
	v_mad_co_u64_u32 v[8:9], null, s4, v49, 0
	s_wait_dscnt 0x0
	v_lshrrev_b32_e32 v4, 16, v1
	s_wait_loadcnt 0x0
	v_lshrrev_b32_e32 v5, 16, v0
	s_delay_alu instid0(VALU_DEP_1) | instskip(SKIP_1) | instid1(VALU_DEP_2)
	v_mul_f16_e32 v6, v4, v5
	v_mul_f16_e32 v5, v1, v5
	v_fmac_f16_e32 v6, v1, v0
	s_delay_alu instid0(VALU_DEP_2) | instskip(NEXT) | instid1(VALU_DEP_2)
	v_fma_f16 v0, v0, v4, -v5
	v_cvt_f32_f16_e32 v1, v6
	s_delay_alu instid0(VALU_DEP_2) | instskip(SKIP_1) | instid1(VALU_DEP_3)
	v_cvt_f32_f16_e32 v4, v0
	v_mad_co_u64_u32 v[6:7], null, s6, v15, 0
	v_cvt_f64_f32_e32 v[0:1], v1
	s_delay_alu instid0(VALU_DEP_3) | instskip(SKIP_1) | instid1(VALU_DEP_2)
	v_cvt_f64_f32_e32 v[4:5], v4
	s_wait_alu 0xfffe
	v_mul_f64_e32 v[0:1], s[10:11], v[0:1]
	s_delay_alu instid0(VALU_DEP_2) | instskip(NEXT) | instid1(VALU_DEP_2)
	v_mul_f64_e32 v[4:5], s[10:11], v[4:5]
	v_and_or_b32 v0, 0x1ff, v1, v0
	s_delay_alu instid0(VALU_DEP_2)
	v_and_or_b32 v4, 0x1ff, v5, v4
	v_lshrrev_b32_e32 v10, 8, v1
	v_bfe_u32 v12, v1, 20, 11
	v_bfe_u32 v13, v5, 20, 11
	v_cmp_ne_u32_e32 vcc_lo, 0, v0
	v_lshrrev_b32_e32 v11, 8, v5
	v_mov_b32_e32 v0, v9
	v_sub_nc_u32_e32 v16, 0x3f1, v12
	v_sub_nc_u32_e32 v17, 0x3f1, v13
	v_cndmask_b32_e64 v14, 0, 1, vcc_lo
	v_cmp_ne_u32_e32 vcc_lo, 0, v4
	v_add_nc_u32_e32 v12, 0xfffffc10, v12
	v_lshrrev_b32_e32 v5, 16, v5
	s_delay_alu instid0(VALU_DEP_4)
	v_and_or_b32 v14, 0xffe, v10, v14
	s_wait_alu 0xfffd
	v_cndmask_b32_e64 v4, 0, 1, vcc_lo
	v_mad_co_u64_u32 v[9:10], null, s7, v15, v[7:8]
	v_med3_i32 v15, v16, 0, 13
	v_med3_i32 v16, v17, 0, 13
	s_delay_alu instid0(VALU_DEP_4) | instskip(SKIP_2) | instid1(VALU_DEP_3)
	v_and_or_b32 v4, 0xffe, v11, v4
	v_or_b32_e32 v17, 0x1000, v14
	v_mov_b32_e32 v7, v9
	v_or_b32_e32 v18, 0x1000, v4
	v_mad_co_u64_u32 v[10:11], null, s5, v49, v[0:1]
	s_delay_alu instid0(VALU_DEP_4) | instskip(SKIP_1) | instid1(VALU_DEP_4)
	v_lshrrev_b32_e32 v0, v15, v17
	v_lshrrev_b32_e32 v1, 16, v1
	;; [unrolled: 1-line block ×3, first 2 shown]
	v_lshlrev_b64_e32 v[6:7], 2, v[6:7]
	s_delay_alu instid0(VALU_DEP_4) | instskip(NEXT) | instid1(VALU_DEP_3)
	v_lshlrev_b32_e32 v15, v15, v0
	v_dual_mov_b32 v9, v10 :: v_dual_lshlrev_b32 v10, v16, v11
	v_lshl_or_b32 v16, v12, 12, v14
	s_delay_alu instid0(VALU_DEP_3) | instskip(NEXT) | instid1(VALU_DEP_3)
	v_cmp_ne_u32_e32 vcc_lo, v15, v17
	v_lshlrev_b64_e32 v[8:9], 2, v[8:9]
	s_wait_alu 0xfffd
	v_cndmask_b32_e64 v15, 0, 1, vcc_lo
	v_cmp_ne_u32_e32 vcc_lo, v10, v18
	s_delay_alu instid0(VALU_DEP_2) | instskip(SKIP_4) | instid1(VALU_DEP_3)
	v_or_b32_e32 v0, v0, v15
	s_wait_alu 0xfffd
	v_cndmask_b32_e64 v10, 0, 1, vcc_lo
	v_cmp_gt_i32_e32 vcc_lo, 1, v12
	v_add_nc_u32_e32 v13, 0xfffffc10, v13
	v_or_b32_e32 v10, v11, v10
	s_wait_alu 0xfffd
	v_cndmask_b32_e32 v0, v16, v0, vcc_lo
	s_delay_alu instid0(VALU_DEP_3) | instskip(SKIP_2) | instid1(VALU_DEP_2)
	v_lshl_or_b32 v15, v13, 12, v4
	v_cmp_gt_i32_e32 vcc_lo, 1, v13
	s_wait_alu 0xfffd
	v_cndmask_b32_e32 v10, v15, v10, vcc_lo
	v_cmp_ne_u32_e32 vcc_lo, 0, v14
	v_and_b32_e32 v14, 7, v0
	v_lshrrev_b32_e32 v0, 2, v0
	s_wait_alu 0xfffd
	v_cndmask_b32_e64 v11, 0, 1, vcc_lo
	v_cmp_ne_u32_e32 vcc_lo, 0, v4
	v_cmp_eq_u32_e64 s0, 3, v14
	s_delay_alu instid0(VALU_DEP_3) | instskip(SKIP_3) | instid1(VALU_DEP_2)
	v_lshl_or_b32 v11, v11, 9, 0x7c00
	s_wait_alu 0xfffd
	v_cndmask_b32_e64 v4, 0, 1, vcc_lo
	v_cmp_lt_i32_e32 vcc_lo, 5, v14
	v_lshl_or_b32 v4, v4, 9, 0x7c00
	s_or_b32 vcc_lo, s0, vcc_lo
	s_wait_alu 0xfffe
	v_add_co_ci_u32_e32 v0, vcc_lo, 0, v0, vcc_lo
	v_and_b32_e32 v15, 7, v10
	v_lshrrev_b32_e32 v10, 2, v10
	s_delay_alu instid0(VALU_DEP_2) | instskip(SKIP_1) | instid1(VALU_DEP_1)
	v_cmp_lt_i32_e64 s1, 5, v15
	v_cmp_eq_u32_e64 s2, 3, v15
	s_or_b32 vcc_lo, s2, s1
	s_wait_alu 0xfffe
	v_add_co_ci_u32_e32 v10, vcc_lo, 0, v10, vcc_lo
	v_cmp_gt_i32_e32 vcc_lo, 31, v12
	s_wait_alu 0xfffd
	v_cndmask_b32_e32 v0, 0x7c00, v0, vcc_lo
	v_cmp_gt_i32_e32 vcc_lo, 31, v13
	s_wait_alu 0xfffd
	v_cndmask_b32_e32 v10, 0x7c00, v10, vcc_lo
	v_cmp_eq_u32_e32 vcc_lo, 0x40f, v12
	s_wait_alu 0xfffd
	v_cndmask_b32_e32 v0, v0, v11, vcc_lo
	v_cmp_eq_u32_e32 vcc_lo, 0x40f, v13
	s_wait_alu 0xfffd
	v_cndmask_b32_e32 v4, v10, v4, vcc_lo
	s_delay_alu instid0(VALU_DEP_3)
	v_and_or_b32 v10, 0x8000, v1, v0
	v_add_co_u32 v0, vcc_lo, s12, v6
	s_wait_alu 0xfffd
	v_add_co_ci_u32_e32 v1, vcc_lo, s13, v7, vcc_lo
	v_and_or_b32 v6, 0x8000, v5, v4
	v_and_b32_e32 v7, 0xffff, v10
	v_add_co_u32 v4, vcc_lo, v0, v8
	s_wait_alu 0xfffd
	v_add_co_ci_u32_e32 v5, vcc_lo, v1, v9, vcc_lo
	s_delay_alu instid0(VALU_DEP_3)
	v_lshl_or_b32 v6, v6, 16, v7
	global_store_b32 v[4:5], v6, off
	global_load_b32 v6, v33, s[8:9] offset:128
	ds_load_2addr_b32 v[4:5], v51 offset0:32 offset1:64
	s_wait_dscnt 0x0
	v_lshrrev_b32_e32 v7, 16, v4
	s_wait_loadcnt 0x0
	v_lshrrev_b32_e32 v8, 16, v6
	s_delay_alu instid0(VALU_DEP_1) | instskip(SKIP_1) | instid1(VALU_DEP_2)
	v_mul_f16_e32 v9, v7, v8
	v_mul_f16_e32 v8, v4, v8
	v_fmac_f16_e32 v9, v4, v6
	s_delay_alu instid0(VALU_DEP_2) | instskip(NEXT) | instid1(VALU_DEP_2)
	v_fma_f16 v4, v6, v7, -v8
	v_cvt_f32_f16_e32 v6, v9
	s_delay_alu instid0(VALU_DEP_2) | instskip(NEXT) | instid1(VALU_DEP_2)
	v_cvt_f32_f16_e32 v4, v4
	v_cvt_f64_f32_e32 v[6:7], v6
	s_delay_alu instid0(VALU_DEP_2) | instskip(NEXT) | instid1(VALU_DEP_2)
	v_cvt_f64_f32_e32 v[8:9], v4
	v_mul_f64_e32 v[6:7], s[10:11], v[6:7]
	s_delay_alu instid0(VALU_DEP_2) | instskip(NEXT) | instid1(VALU_DEP_2)
	v_mul_f64_e32 v[8:9], s[10:11], v[8:9]
	v_and_or_b32 v4, 0x1ff, v7, v6
	s_delay_alu instid0(VALU_DEP_2)
	v_and_or_b32 v8, 0x1ff, v9, v8
	v_lshrrev_b32_e32 v6, 8, v7
	v_bfe_u32 v12, v7, 20, 11
	v_lshrrev_b32_e32 v10, 8, v9
	v_cmp_ne_u32_e32 vcc_lo, 0, v4
	v_bfe_u32 v13, v9, 20, 11
	v_lshrrev_b32_e32 v7, 16, v7
	v_sub_nc_u32_e32 v11, 0x3f1, v12
	v_lshrrev_b32_e32 v9, 16, v9
	s_wait_alu 0xfffd
	v_cndmask_b32_e64 v4, 0, 1, vcc_lo
	v_cmp_ne_u32_e32 vcc_lo, 0, v8
	v_sub_nc_u32_e32 v14, 0x3f1, v13
	v_add_nc_u32_e32 v13, 0xfffffc10, v13
	s_delay_alu instid0(VALU_DEP_4)
	v_and_or_b32 v6, 0xffe, v6, v4
	s_wait_alu 0xfffd
	v_cndmask_b32_e64 v8, 0, 1, vcc_lo
	v_med3_i32 v4, v11, 0, 13
	v_med3_i32 v14, v14, 0, 13
	v_or_b32_e32 v15, 0x1000, v6
	s_delay_alu instid0(VALU_DEP_4) | instskip(SKIP_1) | instid1(VALU_DEP_3)
	v_and_or_b32 v8, 0xffe, v10, v8
	v_mad_co_u64_u32 v[10:11], null, s4, v48, 0
	v_lshrrev_b32_e32 v17, v4, v15
	s_delay_alu instid0(VALU_DEP_3) | instskip(NEXT) | instid1(VALU_DEP_2)
	v_or_b32_e32 v16, 0x1000, v8
	v_lshlrev_b32_e32 v19, v4, v17
	s_delay_alu instid0(VALU_DEP_2) | instskip(SKIP_1) | instid1(VALU_DEP_3)
	v_lshrrev_b32_e32 v18, v14, v16
	v_mov_b32_e32 v4, v11
	v_cmp_ne_u32_e32 vcc_lo, v19, v15
	s_delay_alu instid0(VALU_DEP_3) | instskip(SKIP_3) | instid1(VALU_DEP_3)
	v_lshlrev_b32_e32 v11, v14, v18
	v_add_nc_u32_e32 v14, 0xfffffc10, v12
	s_wait_alu 0xfffd
	v_cndmask_b32_e64 v15, 0, 1, vcc_lo
	v_cmp_ne_u32_e32 vcc_lo, v11, v16
	v_mad_co_u64_u32 v[11:12], null, s5, v48, v[4:5]
	v_lshl_or_b32 v4, v14, 12, v6
	s_delay_alu instid0(VALU_DEP_4) | instskip(SKIP_4) | instid1(VALU_DEP_3)
	v_or_b32_e32 v12, v17, v15
	s_wait_alu 0xfffd
	v_cndmask_b32_e64 v16, 0, 1, vcc_lo
	v_cmp_gt_i32_e32 vcc_lo, 1, v14
	v_lshl_or_b32 v15, v13, 12, v8
	v_or_b32_e32 v16, v18, v16
	s_wait_alu 0xfffd
	v_cndmask_b32_e32 v4, v4, v12, vcc_lo
	v_cmp_gt_i32_e32 vcc_lo, 1, v13
	s_wait_alu 0xfffd
	v_cndmask_b32_e32 v12, v15, v16, vcc_lo
	v_cmp_ne_u32_e32 vcc_lo, 0, v6
	s_delay_alu instid0(VALU_DEP_2)
	v_and_b32_e32 v16, 7, v12
	s_wait_alu 0xfffd
	v_cndmask_b32_e64 v6, 0, 1, vcc_lo
	v_cmp_ne_u32_e32 vcc_lo, 0, v8
	v_lshrrev_b32_e32 v12, 2, v12
	v_cmp_lt_i32_e64 s1, 5, v16
	s_delay_alu instid0(VALU_DEP_4)
	v_lshl_or_b32 v6, v6, 9, 0x7c00
	v_and_b32_e32 v15, 7, v4
	s_wait_alu 0xfffd
	v_cndmask_b32_e64 v8, 0, 1, vcc_lo
	v_lshrrev_b32_e32 v4, 2, v4
	v_cmp_eq_u32_e64 s2, 3, v16
	v_cmp_lt_i32_e32 vcc_lo, 5, v15
	v_cmp_eq_u32_e64 s0, 3, v15
	v_lshl_or_b32 v8, v8, 9, 0x7c00
	s_delay_alu instid0(VALU_DEP_2)
	s_or_b32 vcc_lo, s0, vcc_lo
	s_wait_alu 0xfffe
	v_add_co_ci_u32_e32 v4, vcc_lo, 0, v4, vcc_lo
	s_or_b32 vcc_lo, s2, s1
	s_wait_alu 0xfffe
	v_add_co_ci_u32_e32 v12, vcc_lo, 0, v12, vcc_lo
	v_cmp_gt_i32_e32 vcc_lo, 31, v14
	s_wait_alu 0xfffd
	v_cndmask_b32_e32 v4, 0x7c00, v4, vcc_lo
	v_cmp_gt_i32_e32 vcc_lo, 31, v13
	s_wait_alu 0xfffd
	v_cndmask_b32_e32 v12, 0x7c00, v12, vcc_lo
	v_cmp_eq_u32_e32 vcc_lo, 0x40f, v14
	s_wait_alu 0xfffd
	v_cndmask_b32_e32 v4, v4, v6, vcc_lo
	v_cmp_eq_u32_e32 vcc_lo, 0x40f, v13
	s_delay_alu instid0(VALU_DEP_2) | instskip(SKIP_3) | instid1(VALU_DEP_3)
	v_and_or_b32 v4, 0x8000, v7, v4
	s_wait_alu 0xfffd
	v_cndmask_b32_e32 v8, v12, v8, vcc_lo
	v_lshlrev_b64_e32 v[6:7], 2, v[10:11]
	v_and_b32_e32 v4, 0xffff, v4
	s_delay_alu instid0(VALU_DEP_3) | instskip(NEXT) | instid1(VALU_DEP_3)
	v_and_or_b32 v8, 0x8000, v9, v8
	v_add_co_u32 v6, vcc_lo, v0, v6
	s_wait_alu 0xfffd
	s_delay_alu instid0(VALU_DEP_4) | instskip(NEXT) | instid1(VALU_DEP_3)
	v_add_co_ci_u32_e32 v7, vcc_lo, v1, v7, vcc_lo
	v_lshl_or_b32 v4, v8, 16, v4
	global_store_b32 v[6:7], v4, off
	global_load_b32 v4, v33, s[8:9] offset:256
	v_lshrrev_b32_e32 v6, 16, v5
	s_wait_loadcnt 0x0
	v_lshrrev_b32_e32 v7, 16, v4
	s_delay_alu instid0(VALU_DEP_1) | instskip(SKIP_1) | instid1(VALU_DEP_2)
	v_mul_f16_e32 v8, v6, v7
	v_mul_f16_e32 v7, v5, v7
	v_fmac_f16_e32 v8, v5, v4
	s_delay_alu instid0(VALU_DEP_2) | instskip(NEXT) | instid1(VALU_DEP_2)
	v_fma_f16 v4, v4, v6, -v7
	v_cvt_f32_f16_e32 v5, v8
	s_delay_alu instid0(VALU_DEP_2) | instskip(NEXT) | instid1(VALU_DEP_2)
	v_cvt_f32_f16_e32 v6, v4
	v_cvt_f64_f32_e32 v[4:5], v5
	s_delay_alu instid0(VALU_DEP_2) | instskip(NEXT) | instid1(VALU_DEP_2)
	v_cvt_f64_f32_e32 v[6:7], v6
	v_mul_f64_e32 v[4:5], s[10:11], v[4:5]
	s_delay_alu instid0(VALU_DEP_2) | instskip(NEXT) | instid1(VALU_DEP_2)
	v_mul_f64_e32 v[6:7], s[10:11], v[6:7]
	v_and_or_b32 v4, 0x1ff, v5, v4
	s_delay_alu instid0(VALU_DEP_2)
	v_and_or_b32 v6, 0x1ff, v7, v6
	v_lshrrev_b32_e32 v8, 8, v5
	v_bfe_u32 v10, v5, 20, 11
	v_bfe_u32 v11, v7, 20, 11
	v_cmp_ne_u32_e32 vcc_lo, 0, v4
	v_lshrrev_b32_e32 v9, 8, v7
	v_lshrrev_b32_e32 v7, 16, v7
	v_sub_nc_u32_e32 v12, 0x3f1, v10
	v_sub_nc_u32_e32 v13, 0x3f1, v11
	s_wait_alu 0xfffd
	v_cndmask_b32_e64 v4, 0, 1, vcc_lo
	v_cmp_ne_u32_e32 vcc_lo, 0, v6
	v_add_nc_u32_e32 v11, 0xfffffc10, v11
	s_delay_alu instid0(VALU_DEP_3)
	v_and_or_b32 v14, 0xffe, v8, v4
	s_wait_alu 0xfffd
	v_cndmask_b32_e64 v6, 0, 1, vcc_lo
	v_med3_i32 v4, v12, 0, 13
	v_med3_i32 v12, v13, 0, 13
	v_or_b32_e32 v13, 0x1000, v14
	s_delay_alu instid0(VALU_DEP_4) | instskip(SKIP_1) | instid1(VALU_DEP_3)
	v_and_or_b32 v6, 0xffe, v9, v6
	v_mad_co_u64_u32 v[8:9], null, s4, v47, 0
	v_lshrrev_b32_e32 v16, v4, v13
	s_delay_alu instid0(VALU_DEP_3) | instskip(NEXT) | instid1(VALU_DEP_2)
	v_or_b32_e32 v15, 0x1000, v6
	v_lshlrev_b32_e32 v18, v4, v16
	s_delay_alu instid0(VALU_DEP_2) | instskip(SKIP_1) | instid1(VALU_DEP_3)
	v_lshrrev_b32_e32 v17, v12, v15
	v_mov_b32_e32 v4, v9
	v_cmp_ne_u32_e32 vcc_lo, v18, v13
	s_delay_alu instid0(VALU_DEP_3) | instskip(SKIP_3) | instid1(VALU_DEP_3)
	v_lshlrev_b32_e32 v9, v12, v17
	v_add_nc_u32_e32 v12, 0xfffffc10, v10
	s_wait_alu 0xfffd
	v_cndmask_b32_e64 v13, 0, 1, vcc_lo
	v_cmp_ne_u32_e32 vcc_lo, v9, v15
	v_mad_co_u64_u32 v[9:10], null, s5, v47, v[4:5]
	v_lshl_or_b32 v4, v12, 12, v14
	s_delay_alu instid0(VALU_DEP_4)
	v_or_b32_e32 v10, v16, v13
	s_wait_alu 0xfffd
	v_cndmask_b32_e64 v15, 0, 1, vcc_lo
	v_cmp_gt_i32_e32 vcc_lo, 1, v12
	v_lshl_or_b32 v13, v11, 12, v6
	v_lshrrev_b32_e32 v5, 16, v5
	s_delay_alu instid0(VALU_DEP_4)
	v_or_b32_e32 v15, v17, v15
	s_wait_alu 0xfffd
	v_cndmask_b32_e32 v4, v4, v10, vcc_lo
	v_cmp_gt_i32_e32 vcc_lo, 1, v11
	s_wait_alu 0xfffd
	v_cndmask_b32_e32 v10, v13, v15, vcc_lo
	v_cmp_ne_u32_e32 vcc_lo, 0, v14
	v_and_b32_e32 v14, 7, v4
	v_lshrrev_b32_e32 v4, 2, v4
	s_delay_alu instid0(VALU_DEP_4)
	v_and_b32_e32 v15, 7, v10
	s_wait_alu 0xfffd
	v_cndmask_b32_e64 v13, 0, 1, vcc_lo
	v_cmp_ne_u32_e32 vcc_lo, 0, v6
	v_cmp_eq_u32_e64 s0, 3, v14
	v_lshrrev_b32_e32 v10, 2, v10
	v_cmp_lt_i32_e64 s1, 5, v15
	v_cmp_eq_u32_e64 s2, 3, v15
	s_wait_alu 0xfffd
	v_cndmask_b32_e64 v6, 0, 1, vcc_lo
	v_cmp_lt_i32_e32 vcc_lo, 5, v14
	v_lshl_or_b32 v13, v13, 9, 0x7c00
	s_delay_alu instid0(VALU_DEP_3)
	v_lshl_or_b32 v6, v6, 9, 0x7c00
	s_or_b32 vcc_lo, s0, vcc_lo
	s_wait_alu 0xfffe
	v_add_co_ci_u32_e32 v4, vcc_lo, 0, v4, vcc_lo
	s_or_b32 vcc_lo, s2, s1
	s_wait_alu 0xfffe
	v_add_co_ci_u32_e32 v10, vcc_lo, 0, v10, vcc_lo
	v_cmp_gt_i32_e32 vcc_lo, 31, v12
	s_wait_alu 0xfffd
	v_cndmask_b32_e32 v4, 0x7c00, v4, vcc_lo
	v_cmp_gt_i32_e32 vcc_lo, 31, v11
	s_wait_alu 0xfffd
	v_cndmask_b32_e32 v10, 0x7c00, v10, vcc_lo
	v_cmp_eq_u32_e32 vcc_lo, 0x40f, v12
	s_wait_alu 0xfffd
	v_cndmask_b32_e32 v4, v4, v13, vcc_lo
	v_cmp_eq_u32_e32 vcc_lo, 0x40f, v11
	s_wait_alu 0xfffd
	v_cndmask_b32_e32 v6, v10, v6, vcc_lo
	s_delay_alu instid0(VALU_DEP_3) | instskip(SKIP_1) | instid1(VALU_DEP_3)
	v_and_or_b32 v10, 0x8000, v5, v4
	v_lshlrev_b64_e32 v[4:5], 2, v[8:9]
	v_and_or_b32 v6, 0x8000, v7, v6
	s_delay_alu instid0(VALU_DEP_3) | instskip(NEXT) | instid1(VALU_DEP_3)
	v_and_b32_e32 v7, 0xffff, v10
	v_add_co_u32 v4, vcc_lo, v0, v4
	s_wait_alu 0xfffd
	s_delay_alu instid0(VALU_DEP_4) | instskip(NEXT) | instid1(VALU_DEP_3)
	v_add_co_ci_u32_e32 v5, vcc_lo, v1, v5, vcc_lo
	v_lshl_or_b32 v6, v6, 16, v7
	global_store_b32 v[4:5], v6, off
	global_load_b32 v6, v33, s[8:9] offset:384
	ds_load_2addr_b32 v[4:5], v51 offset0:96 offset1:128
	s_wait_dscnt 0x0
	v_lshrrev_b32_e32 v7, 16, v4
	s_wait_loadcnt 0x0
	v_lshrrev_b32_e32 v8, 16, v6
	s_delay_alu instid0(VALU_DEP_1) | instskip(SKIP_1) | instid1(VALU_DEP_2)
	v_mul_f16_e32 v9, v7, v8
	v_mul_f16_e32 v8, v4, v8
	v_fmac_f16_e32 v9, v4, v6
	s_delay_alu instid0(VALU_DEP_2) | instskip(NEXT) | instid1(VALU_DEP_2)
	v_fma_f16 v4, v6, v7, -v8
	v_cvt_f32_f16_e32 v6, v9
	s_delay_alu instid0(VALU_DEP_2) | instskip(NEXT) | instid1(VALU_DEP_2)
	v_cvt_f32_f16_e32 v4, v4
	v_cvt_f64_f32_e32 v[6:7], v6
	s_delay_alu instid0(VALU_DEP_2) | instskip(NEXT) | instid1(VALU_DEP_2)
	v_cvt_f64_f32_e32 v[8:9], v4
	v_mul_f64_e32 v[6:7], s[10:11], v[6:7]
	s_delay_alu instid0(VALU_DEP_2) | instskip(NEXT) | instid1(VALU_DEP_2)
	v_mul_f64_e32 v[8:9], s[10:11], v[8:9]
	v_and_or_b32 v4, 0x1ff, v7, v6
	s_delay_alu instid0(VALU_DEP_2)
	v_and_or_b32 v8, 0x1ff, v9, v8
	v_lshrrev_b32_e32 v6, 8, v7
	v_bfe_u32 v12, v7, 20, 11
	v_lshrrev_b32_e32 v10, 8, v9
	v_cmp_ne_u32_e32 vcc_lo, 0, v4
	v_bfe_u32 v13, v9, 20, 11
	v_lshrrev_b32_e32 v7, 16, v7
	v_sub_nc_u32_e32 v11, 0x3f1, v12
	v_lshrrev_b32_e32 v9, 16, v9
	s_wait_alu 0xfffd
	v_cndmask_b32_e64 v4, 0, 1, vcc_lo
	v_cmp_ne_u32_e32 vcc_lo, 0, v8
	v_sub_nc_u32_e32 v14, 0x3f1, v13
	v_add_nc_u32_e32 v13, 0xfffffc10, v13
	s_delay_alu instid0(VALU_DEP_4)
	v_and_or_b32 v6, 0xffe, v6, v4
	s_wait_alu 0xfffd
	v_cndmask_b32_e64 v8, 0, 1, vcc_lo
	v_med3_i32 v4, v11, 0, 13
	v_med3_i32 v14, v14, 0, 13
	v_or_b32_e32 v15, 0x1000, v6
	s_delay_alu instid0(VALU_DEP_4) | instskip(SKIP_1) | instid1(VALU_DEP_3)
	v_and_or_b32 v8, 0xffe, v10, v8
	v_mad_co_u64_u32 v[10:11], null, s4, v46, 0
	v_lshrrev_b32_e32 v17, v4, v15
	s_delay_alu instid0(VALU_DEP_3) | instskip(NEXT) | instid1(VALU_DEP_2)
	v_or_b32_e32 v16, 0x1000, v8
	v_lshlrev_b32_e32 v19, v4, v17
	s_delay_alu instid0(VALU_DEP_2) | instskip(SKIP_1) | instid1(VALU_DEP_3)
	v_lshrrev_b32_e32 v18, v14, v16
	v_mov_b32_e32 v4, v11
	v_cmp_ne_u32_e32 vcc_lo, v19, v15
	s_delay_alu instid0(VALU_DEP_3) | instskip(SKIP_3) | instid1(VALU_DEP_3)
	v_lshlrev_b32_e32 v11, v14, v18
	v_add_nc_u32_e32 v14, 0xfffffc10, v12
	s_wait_alu 0xfffd
	v_cndmask_b32_e64 v15, 0, 1, vcc_lo
	v_cmp_ne_u32_e32 vcc_lo, v11, v16
	v_mad_co_u64_u32 v[11:12], null, s5, v46, v[4:5]
	v_lshl_or_b32 v4, v14, 12, v6
	s_delay_alu instid0(VALU_DEP_4) | instskip(SKIP_4) | instid1(VALU_DEP_3)
	v_or_b32_e32 v12, v17, v15
	s_wait_alu 0xfffd
	v_cndmask_b32_e64 v16, 0, 1, vcc_lo
	v_cmp_gt_i32_e32 vcc_lo, 1, v14
	v_lshl_or_b32 v15, v13, 12, v8
	v_or_b32_e32 v16, v18, v16
	s_wait_alu 0xfffd
	v_cndmask_b32_e32 v4, v4, v12, vcc_lo
	v_cmp_gt_i32_e32 vcc_lo, 1, v13
	s_wait_alu 0xfffd
	v_cndmask_b32_e32 v12, v15, v16, vcc_lo
	v_cmp_ne_u32_e32 vcc_lo, 0, v6
	v_and_b32_e32 v15, 7, v4
	v_lshrrev_b32_e32 v4, 2, v4
	s_delay_alu instid0(VALU_DEP_4)
	v_and_b32_e32 v16, 7, v12
	s_wait_alu 0xfffd
	v_cndmask_b32_e64 v6, 0, 1, vcc_lo
	v_cmp_ne_u32_e32 vcc_lo, 0, v8
	v_cmp_eq_u32_e64 s0, 3, v15
	v_lshrrev_b32_e32 v12, 2, v12
	v_cmp_lt_i32_e64 s1, 5, v16
	v_cmp_eq_u32_e64 s2, 3, v16
	s_wait_alu 0xfffd
	v_cndmask_b32_e64 v8, 0, 1, vcc_lo
	v_cmp_lt_i32_e32 vcc_lo, 5, v15
	v_lshl_or_b32 v6, v6, 9, 0x7c00
	s_delay_alu instid0(VALU_DEP_3)
	v_lshl_or_b32 v8, v8, 9, 0x7c00
	s_or_b32 vcc_lo, s0, vcc_lo
	s_wait_alu 0xfffe
	v_add_co_ci_u32_e32 v4, vcc_lo, 0, v4, vcc_lo
	s_or_b32 vcc_lo, s2, s1
	s_wait_alu 0xfffe
	v_add_co_ci_u32_e32 v12, vcc_lo, 0, v12, vcc_lo
	v_cmp_gt_i32_e32 vcc_lo, 31, v14
	s_wait_alu 0xfffd
	v_cndmask_b32_e32 v4, 0x7c00, v4, vcc_lo
	v_cmp_gt_i32_e32 vcc_lo, 31, v13
	s_wait_alu 0xfffd
	v_cndmask_b32_e32 v12, 0x7c00, v12, vcc_lo
	v_cmp_eq_u32_e32 vcc_lo, 0x40f, v14
	s_wait_alu 0xfffd
	v_cndmask_b32_e32 v4, v4, v6, vcc_lo
	v_cmp_eq_u32_e32 vcc_lo, 0x40f, v13
	s_delay_alu instid0(VALU_DEP_2) | instskip(SKIP_3) | instid1(VALU_DEP_3)
	v_and_or_b32 v4, 0x8000, v7, v4
	s_wait_alu 0xfffd
	v_cndmask_b32_e32 v8, v12, v8, vcc_lo
	v_lshlrev_b64_e32 v[6:7], 2, v[10:11]
	v_and_b32_e32 v4, 0xffff, v4
	s_delay_alu instid0(VALU_DEP_3) | instskip(NEXT) | instid1(VALU_DEP_3)
	v_and_or_b32 v8, 0x8000, v9, v8
	v_add_co_u32 v6, vcc_lo, v0, v6
	s_wait_alu 0xfffd
	s_delay_alu instid0(VALU_DEP_4) | instskip(NEXT) | instid1(VALU_DEP_3)
	v_add_co_ci_u32_e32 v7, vcc_lo, v1, v7, vcc_lo
	v_lshl_or_b32 v4, v8, 16, v4
	global_store_b32 v[6:7], v4, off
	global_load_b32 v4, v33, s[8:9] offset:512
	v_lshrrev_b32_e32 v6, 16, v5
	s_wait_loadcnt 0x0
	v_lshrrev_b32_e32 v7, 16, v4
	s_delay_alu instid0(VALU_DEP_1) | instskip(SKIP_1) | instid1(VALU_DEP_2)
	v_mul_f16_e32 v8, v6, v7
	v_mul_f16_e32 v7, v5, v7
	v_fmac_f16_e32 v8, v5, v4
	s_delay_alu instid0(VALU_DEP_2) | instskip(NEXT) | instid1(VALU_DEP_2)
	v_fma_f16 v4, v4, v6, -v7
	v_cvt_f32_f16_e32 v5, v8
	s_delay_alu instid0(VALU_DEP_2) | instskip(NEXT) | instid1(VALU_DEP_2)
	v_cvt_f32_f16_e32 v6, v4
	v_cvt_f64_f32_e32 v[4:5], v5
	s_delay_alu instid0(VALU_DEP_2) | instskip(NEXT) | instid1(VALU_DEP_2)
	v_cvt_f64_f32_e32 v[6:7], v6
	v_mul_f64_e32 v[4:5], s[10:11], v[4:5]
	s_delay_alu instid0(VALU_DEP_2) | instskip(NEXT) | instid1(VALU_DEP_2)
	v_mul_f64_e32 v[6:7], s[10:11], v[6:7]
	v_and_or_b32 v4, 0x1ff, v5, v4
	s_delay_alu instid0(VALU_DEP_2)
	v_and_or_b32 v6, 0x1ff, v7, v6
	v_lshrrev_b32_e32 v8, 8, v5
	v_bfe_u32 v10, v5, 20, 11
	v_bfe_u32 v11, v7, 20, 11
	v_cmp_ne_u32_e32 vcc_lo, 0, v4
	v_lshrrev_b32_e32 v9, 8, v7
	v_lshrrev_b32_e32 v7, 16, v7
	v_sub_nc_u32_e32 v12, 0x3f1, v10
	v_sub_nc_u32_e32 v13, 0x3f1, v11
	s_wait_alu 0xfffd
	v_cndmask_b32_e64 v4, 0, 1, vcc_lo
	v_cmp_ne_u32_e32 vcc_lo, 0, v6
	v_add_nc_u32_e32 v11, 0xfffffc10, v11
	s_delay_alu instid0(VALU_DEP_3)
	v_and_or_b32 v14, 0xffe, v8, v4
	s_wait_alu 0xfffd
	v_cndmask_b32_e64 v6, 0, 1, vcc_lo
	v_med3_i32 v4, v12, 0, 13
	v_med3_i32 v12, v13, 0, 13
	v_or_b32_e32 v13, 0x1000, v14
	s_delay_alu instid0(VALU_DEP_4) | instskip(SKIP_1) | instid1(VALU_DEP_3)
	v_and_or_b32 v6, 0xffe, v9, v6
	v_mad_co_u64_u32 v[8:9], null, s4, v45, 0
	v_lshrrev_b32_e32 v16, v4, v13
	s_delay_alu instid0(VALU_DEP_3) | instskip(NEXT) | instid1(VALU_DEP_2)
	v_or_b32_e32 v15, 0x1000, v6
	v_lshlrev_b32_e32 v18, v4, v16
	s_delay_alu instid0(VALU_DEP_2) | instskip(SKIP_1) | instid1(VALU_DEP_3)
	v_lshrrev_b32_e32 v17, v12, v15
	v_mov_b32_e32 v4, v9
	v_cmp_ne_u32_e32 vcc_lo, v18, v13
	s_delay_alu instid0(VALU_DEP_3) | instskip(SKIP_3) | instid1(VALU_DEP_3)
	v_lshlrev_b32_e32 v9, v12, v17
	v_add_nc_u32_e32 v12, 0xfffffc10, v10
	s_wait_alu 0xfffd
	v_cndmask_b32_e64 v13, 0, 1, vcc_lo
	v_cmp_ne_u32_e32 vcc_lo, v9, v15
	v_mad_co_u64_u32 v[9:10], null, s5, v45, v[4:5]
	v_lshl_or_b32 v4, v12, 12, v14
	s_delay_alu instid0(VALU_DEP_4)
	v_or_b32_e32 v10, v16, v13
	s_wait_alu 0xfffd
	v_cndmask_b32_e64 v15, 0, 1, vcc_lo
	v_cmp_gt_i32_e32 vcc_lo, 1, v12
	v_lshl_or_b32 v13, v11, 12, v6
	v_lshrrev_b32_e32 v5, 16, v5
	s_delay_alu instid0(VALU_DEP_4)
	v_or_b32_e32 v15, v17, v15
	s_wait_alu 0xfffd
	v_cndmask_b32_e32 v4, v4, v10, vcc_lo
	v_cmp_gt_i32_e32 vcc_lo, 1, v11
	s_wait_alu 0xfffd
	v_cndmask_b32_e32 v10, v13, v15, vcc_lo
	v_cmp_ne_u32_e32 vcc_lo, 0, v14
	v_and_b32_e32 v14, 7, v4
	v_lshrrev_b32_e32 v4, 2, v4
	s_delay_alu instid0(VALU_DEP_4)
	v_and_b32_e32 v15, 7, v10
	s_wait_alu 0xfffd
	v_cndmask_b32_e64 v13, 0, 1, vcc_lo
	v_cmp_ne_u32_e32 vcc_lo, 0, v6
	v_cmp_eq_u32_e64 s0, 3, v14
	v_lshrrev_b32_e32 v10, 2, v10
	v_cmp_lt_i32_e64 s1, 5, v15
	v_cmp_eq_u32_e64 s2, 3, v15
	s_wait_alu 0xfffd
	v_cndmask_b32_e64 v6, 0, 1, vcc_lo
	v_cmp_lt_i32_e32 vcc_lo, 5, v14
	v_lshl_or_b32 v13, v13, 9, 0x7c00
	s_delay_alu instid0(VALU_DEP_3)
	v_lshl_or_b32 v6, v6, 9, 0x7c00
	s_or_b32 vcc_lo, s0, vcc_lo
	s_wait_alu 0xfffe
	v_add_co_ci_u32_e32 v4, vcc_lo, 0, v4, vcc_lo
	s_or_b32 vcc_lo, s2, s1
	s_wait_alu 0xfffe
	v_add_co_ci_u32_e32 v10, vcc_lo, 0, v10, vcc_lo
	v_cmp_gt_i32_e32 vcc_lo, 31, v12
	s_wait_alu 0xfffd
	v_cndmask_b32_e32 v4, 0x7c00, v4, vcc_lo
	v_cmp_gt_i32_e32 vcc_lo, 31, v11
	s_wait_alu 0xfffd
	v_cndmask_b32_e32 v10, 0x7c00, v10, vcc_lo
	v_cmp_eq_u32_e32 vcc_lo, 0x40f, v12
	s_wait_alu 0xfffd
	v_cndmask_b32_e32 v4, v4, v13, vcc_lo
	v_cmp_eq_u32_e32 vcc_lo, 0x40f, v11
	s_wait_alu 0xfffd
	v_cndmask_b32_e32 v6, v10, v6, vcc_lo
	s_delay_alu instid0(VALU_DEP_3) | instskip(SKIP_1) | instid1(VALU_DEP_3)
	v_and_or_b32 v10, 0x8000, v5, v4
	v_lshlrev_b64_e32 v[4:5], 2, v[8:9]
	v_and_or_b32 v6, 0x8000, v7, v6
	s_delay_alu instid0(VALU_DEP_3) | instskip(NEXT) | instid1(VALU_DEP_3)
	v_and_b32_e32 v7, 0xffff, v10
	v_add_co_u32 v4, vcc_lo, v0, v4
	s_wait_alu 0xfffd
	s_delay_alu instid0(VALU_DEP_4) | instskip(NEXT) | instid1(VALU_DEP_3)
	v_add_co_ci_u32_e32 v5, vcc_lo, v1, v5, vcc_lo
	v_lshl_or_b32 v6, v6, 16, v7
	global_store_b32 v[4:5], v6, off
	global_load_b32 v6, v33, s[8:9] offset:640
	ds_load_2addr_b32 v[4:5], v51 offset0:160 offset1:192
	s_wait_dscnt 0x0
	v_lshrrev_b32_e32 v7, 16, v4
	s_wait_loadcnt 0x0
	v_lshrrev_b32_e32 v8, 16, v6
	s_delay_alu instid0(VALU_DEP_1) | instskip(SKIP_1) | instid1(VALU_DEP_2)
	v_mul_f16_e32 v9, v7, v8
	v_mul_f16_e32 v8, v4, v8
	v_fmac_f16_e32 v9, v4, v6
	s_delay_alu instid0(VALU_DEP_2) | instskip(NEXT) | instid1(VALU_DEP_2)
	v_fma_f16 v4, v6, v7, -v8
	v_cvt_f32_f16_e32 v6, v9
	s_delay_alu instid0(VALU_DEP_2) | instskip(NEXT) | instid1(VALU_DEP_2)
	v_cvt_f32_f16_e32 v4, v4
	v_cvt_f64_f32_e32 v[6:7], v6
	s_delay_alu instid0(VALU_DEP_2) | instskip(NEXT) | instid1(VALU_DEP_2)
	v_cvt_f64_f32_e32 v[8:9], v4
	v_mul_f64_e32 v[6:7], s[10:11], v[6:7]
	s_delay_alu instid0(VALU_DEP_2) | instskip(NEXT) | instid1(VALU_DEP_2)
	v_mul_f64_e32 v[8:9], s[10:11], v[8:9]
	v_and_or_b32 v4, 0x1ff, v7, v6
	s_delay_alu instid0(VALU_DEP_2)
	v_and_or_b32 v8, 0x1ff, v9, v8
	v_lshrrev_b32_e32 v6, 8, v7
	v_bfe_u32 v12, v7, 20, 11
	v_lshrrev_b32_e32 v10, 8, v9
	v_cmp_ne_u32_e32 vcc_lo, 0, v4
	v_bfe_u32 v13, v9, 20, 11
	v_lshrrev_b32_e32 v7, 16, v7
	v_sub_nc_u32_e32 v11, 0x3f1, v12
	v_lshrrev_b32_e32 v9, 16, v9
	s_wait_alu 0xfffd
	v_cndmask_b32_e64 v4, 0, 1, vcc_lo
	v_cmp_ne_u32_e32 vcc_lo, 0, v8
	v_sub_nc_u32_e32 v14, 0x3f1, v13
	v_add_nc_u32_e32 v13, 0xfffffc10, v13
	s_delay_alu instid0(VALU_DEP_4)
	v_and_or_b32 v6, 0xffe, v6, v4
	s_wait_alu 0xfffd
	v_cndmask_b32_e64 v8, 0, 1, vcc_lo
	v_med3_i32 v4, v11, 0, 13
	v_med3_i32 v14, v14, 0, 13
	v_or_b32_e32 v15, 0x1000, v6
	s_delay_alu instid0(VALU_DEP_4) | instskip(SKIP_1) | instid1(VALU_DEP_3)
	v_and_or_b32 v8, 0xffe, v10, v8
	v_mad_co_u64_u32 v[10:11], null, s4, v44, 0
	v_lshrrev_b32_e32 v17, v4, v15
	s_delay_alu instid0(VALU_DEP_3) | instskip(NEXT) | instid1(VALU_DEP_2)
	v_or_b32_e32 v16, 0x1000, v8
	v_lshlrev_b32_e32 v19, v4, v17
	s_delay_alu instid0(VALU_DEP_2) | instskip(SKIP_1) | instid1(VALU_DEP_3)
	v_lshrrev_b32_e32 v18, v14, v16
	v_mov_b32_e32 v4, v11
	v_cmp_ne_u32_e32 vcc_lo, v19, v15
	s_delay_alu instid0(VALU_DEP_3) | instskip(SKIP_3) | instid1(VALU_DEP_3)
	v_lshlrev_b32_e32 v11, v14, v18
	v_add_nc_u32_e32 v14, 0xfffffc10, v12
	s_wait_alu 0xfffd
	v_cndmask_b32_e64 v15, 0, 1, vcc_lo
	v_cmp_ne_u32_e32 vcc_lo, v11, v16
	v_mad_co_u64_u32 v[11:12], null, s5, v44, v[4:5]
	v_lshl_or_b32 v4, v14, 12, v6
	s_delay_alu instid0(VALU_DEP_4) | instskip(SKIP_4) | instid1(VALU_DEP_3)
	v_or_b32_e32 v12, v17, v15
	s_wait_alu 0xfffd
	v_cndmask_b32_e64 v16, 0, 1, vcc_lo
	v_cmp_gt_i32_e32 vcc_lo, 1, v14
	v_lshl_or_b32 v15, v13, 12, v8
	v_or_b32_e32 v16, v18, v16
	s_wait_alu 0xfffd
	v_cndmask_b32_e32 v4, v4, v12, vcc_lo
	v_cmp_gt_i32_e32 vcc_lo, 1, v13
	s_wait_alu 0xfffd
	v_cndmask_b32_e32 v12, v15, v16, vcc_lo
	v_cmp_ne_u32_e32 vcc_lo, 0, v6
	v_and_b32_e32 v15, 7, v4
	v_lshrrev_b32_e32 v4, 2, v4
	s_delay_alu instid0(VALU_DEP_4)
	v_and_b32_e32 v16, 7, v12
	s_wait_alu 0xfffd
	v_cndmask_b32_e64 v6, 0, 1, vcc_lo
	v_cmp_ne_u32_e32 vcc_lo, 0, v8
	v_cmp_eq_u32_e64 s0, 3, v15
	v_lshrrev_b32_e32 v12, 2, v12
	v_cmp_lt_i32_e64 s1, 5, v16
	v_cmp_eq_u32_e64 s2, 3, v16
	s_wait_alu 0xfffd
	v_cndmask_b32_e64 v8, 0, 1, vcc_lo
	v_cmp_lt_i32_e32 vcc_lo, 5, v15
	v_lshl_or_b32 v6, v6, 9, 0x7c00
	s_delay_alu instid0(VALU_DEP_3)
	v_lshl_or_b32 v8, v8, 9, 0x7c00
	s_or_b32 vcc_lo, s0, vcc_lo
	s_wait_alu 0xfffe
	v_add_co_ci_u32_e32 v4, vcc_lo, 0, v4, vcc_lo
	s_or_b32 vcc_lo, s2, s1
	s_wait_alu 0xfffe
	v_add_co_ci_u32_e32 v12, vcc_lo, 0, v12, vcc_lo
	v_cmp_gt_i32_e32 vcc_lo, 31, v14
	s_wait_alu 0xfffd
	v_cndmask_b32_e32 v4, 0x7c00, v4, vcc_lo
	v_cmp_gt_i32_e32 vcc_lo, 31, v13
	s_wait_alu 0xfffd
	v_cndmask_b32_e32 v12, 0x7c00, v12, vcc_lo
	v_cmp_eq_u32_e32 vcc_lo, 0x40f, v14
	s_wait_alu 0xfffd
	v_cndmask_b32_e32 v4, v4, v6, vcc_lo
	v_cmp_eq_u32_e32 vcc_lo, 0x40f, v13
	s_delay_alu instid0(VALU_DEP_2) | instskip(SKIP_3) | instid1(VALU_DEP_3)
	v_and_or_b32 v4, 0x8000, v7, v4
	s_wait_alu 0xfffd
	v_cndmask_b32_e32 v8, v12, v8, vcc_lo
	v_lshlrev_b64_e32 v[6:7], 2, v[10:11]
	v_and_b32_e32 v4, 0xffff, v4
	s_delay_alu instid0(VALU_DEP_3) | instskip(NEXT) | instid1(VALU_DEP_3)
	v_and_or_b32 v8, 0x8000, v9, v8
	v_add_co_u32 v6, vcc_lo, v0, v6
	s_wait_alu 0xfffd
	s_delay_alu instid0(VALU_DEP_4) | instskip(NEXT) | instid1(VALU_DEP_3)
	v_add_co_ci_u32_e32 v7, vcc_lo, v1, v7, vcc_lo
	v_lshl_or_b32 v4, v8, 16, v4
	global_store_b32 v[6:7], v4, off
	global_load_b32 v4, v33, s[8:9] offset:768
	v_lshrrev_b32_e32 v6, 16, v5
	s_wait_loadcnt 0x0
	v_lshrrev_b32_e32 v7, 16, v4
	s_delay_alu instid0(VALU_DEP_1) | instskip(SKIP_1) | instid1(VALU_DEP_2)
	v_mul_f16_e32 v8, v6, v7
	v_mul_f16_e32 v7, v5, v7
	v_fmac_f16_e32 v8, v5, v4
	s_delay_alu instid0(VALU_DEP_2) | instskip(NEXT) | instid1(VALU_DEP_2)
	v_fma_f16 v4, v4, v6, -v7
	v_cvt_f32_f16_e32 v5, v8
	s_delay_alu instid0(VALU_DEP_2) | instskip(NEXT) | instid1(VALU_DEP_2)
	v_cvt_f32_f16_e32 v6, v4
	v_cvt_f64_f32_e32 v[4:5], v5
	s_delay_alu instid0(VALU_DEP_2) | instskip(NEXT) | instid1(VALU_DEP_2)
	v_cvt_f64_f32_e32 v[6:7], v6
	v_mul_f64_e32 v[4:5], s[10:11], v[4:5]
	s_delay_alu instid0(VALU_DEP_2) | instskip(NEXT) | instid1(VALU_DEP_2)
	v_mul_f64_e32 v[6:7], s[10:11], v[6:7]
	v_and_or_b32 v4, 0x1ff, v5, v4
	s_delay_alu instid0(VALU_DEP_2)
	v_and_or_b32 v6, 0x1ff, v7, v6
	v_lshrrev_b32_e32 v8, 8, v5
	v_bfe_u32 v10, v5, 20, 11
	v_bfe_u32 v11, v7, 20, 11
	v_cmp_ne_u32_e32 vcc_lo, 0, v4
	v_lshrrev_b32_e32 v9, 8, v7
	v_lshrrev_b32_e32 v7, 16, v7
	v_sub_nc_u32_e32 v12, 0x3f1, v10
	v_sub_nc_u32_e32 v13, 0x3f1, v11
	s_wait_alu 0xfffd
	v_cndmask_b32_e64 v4, 0, 1, vcc_lo
	v_cmp_ne_u32_e32 vcc_lo, 0, v6
	v_add_nc_u32_e32 v11, 0xfffffc10, v11
	s_delay_alu instid0(VALU_DEP_3)
	v_and_or_b32 v14, 0xffe, v8, v4
	s_wait_alu 0xfffd
	v_cndmask_b32_e64 v6, 0, 1, vcc_lo
	v_med3_i32 v4, v12, 0, 13
	v_med3_i32 v12, v13, 0, 13
	v_or_b32_e32 v13, 0x1000, v14
	s_delay_alu instid0(VALU_DEP_4) | instskip(SKIP_1) | instid1(VALU_DEP_3)
	v_and_or_b32 v6, 0xffe, v9, v6
	v_mad_co_u64_u32 v[8:9], null, s4, v43, 0
	v_lshrrev_b32_e32 v16, v4, v13
	s_delay_alu instid0(VALU_DEP_3) | instskip(NEXT) | instid1(VALU_DEP_2)
	v_or_b32_e32 v15, 0x1000, v6
	v_lshlrev_b32_e32 v18, v4, v16
	s_delay_alu instid0(VALU_DEP_2) | instskip(SKIP_1) | instid1(VALU_DEP_3)
	v_lshrrev_b32_e32 v17, v12, v15
	v_mov_b32_e32 v4, v9
	v_cmp_ne_u32_e32 vcc_lo, v18, v13
	s_delay_alu instid0(VALU_DEP_3) | instskip(SKIP_3) | instid1(VALU_DEP_3)
	v_lshlrev_b32_e32 v9, v12, v17
	v_add_nc_u32_e32 v12, 0xfffffc10, v10
	s_wait_alu 0xfffd
	v_cndmask_b32_e64 v13, 0, 1, vcc_lo
	v_cmp_ne_u32_e32 vcc_lo, v9, v15
	v_mad_co_u64_u32 v[9:10], null, s5, v43, v[4:5]
	v_lshl_or_b32 v4, v12, 12, v14
	s_delay_alu instid0(VALU_DEP_4)
	v_or_b32_e32 v10, v16, v13
	s_wait_alu 0xfffd
	v_cndmask_b32_e64 v15, 0, 1, vcc_lo
	v_cmp_gt_i32_e32 vcc_lo, 1, v12
	v_lshl_or_b32 v13, v11, 12, v6
	v_lshrrev_b32_e32 v5, 16, v5
	s_delay_alu instid0(VALU_DEP_4)
	v_or_b32_e32 v15, v17, v15
	s_wait_alu 0xfffd
	v_cndmask_b32_e32 v4, v4, v10, vcc_lo
	v_cmp_gt_i32_e32 vcc_lo, 1, v11
	s_wait_alu 0xfffd
	v_cndmask_b32_e32 v10, v13, v15, vcc_lo
	v_cmp_ne_u32_e32 vcc_lo, 0, v14
	v_and_b32_e32 v14, 7, v4
	v_lshrrev_b32_e32 v4, 2, v4
	s_delay_alu instid0(VALU_DEP_4)
	v_and_b32_e32 v15, 7, v10
	s_wait_alu 0xfffd
	v_cndmask_b32_e64 v13, 0, 1, vcc_lo
	v_cmp_ne_u32_e32 vcc_lo, 0, v6
	v_cmp_eq_u32_e64 s0, 3, v14
	v_lshrrev_b32_e32 v10, 2, v10
	v_cmp_lt_i32_e64 s1, 5, v15
	v_cmp_eq_u32_e64 s2, 3, v15
	s_wait_alu 0xfffd
	v_cndmask_b32_e64 v6, 0, 1, vcc_lo
	v_cmp_lt_i32_e32 vcc_lo, 5, v14
	v_lshl_or_b32 v13, v13, 9, 0x7c00
	s_delay_alu instid0(VALU_DEP_3)
	v_lshl_or_b32 v6, v6, 9, 0x7c00
	s_or_b32 vcc_lo, s0, vcc_lo
	s_wait_alu 0xfffe
	v_add_co_ci_u32_e32 v4, vcc_lo, 0, v4, vcc_lo
	s_or_b32 vcc_lo, s2, s1
	s_wait_alu 0xfffe
	v_add_co_ci_u32_e32 v10, vcc_lo, 0, v10, vcc_lo
	v_cmp_gt_i32_e32 vcc_lo, 31, v12
	s_wait_alu 0xfffd
	v_cndmask_b32_e32 v4, 0x7c00, v4, vcc_lo
	v_cmp_gt_i32_e32 vcc_lo, 31, v11
	s_wait_alu 0xfffd
	v_cndmask_b32_e32 v10, 0x7c00, v10, vcc_lo
	v_cmp_eq_u32_e32 vcc_lo, 0x40f, v12
	s_wait_alu 0xfffd
	v_cndmask_b32_e32 v4, v4, v13, vcc_lo
	v_cmp_eq_u32_e32 vcc_lo, 0x40f, v11
	s_wait_alu 0xfffd
	v_cndmask_b32_e32 v6, v10, v6, vcc_lo
	s_delay_alu instid0(VALU_DEP_3) | instskip(SKIP_1) | instid1(VALU_DEP_3)
	v_and_or_b32 v10, 0x8000, v5, v4
	v_lshlrev_b64_e32 v[4:5], 2, v[8:9]
	v_and_or_b32 v6, 0x8000, v7, v6
	s_delay_alu instid0(VALU_DEP_3) | instskip(NEXT) | instid1(VALU_DEP_3)
	v_and_b32_e32 v7, 0xffff, v10
	v_add_co_u32 v4, vcc_lo, v0, v4
	s_wait_alu 0xfffd
	s_delay_alu instid0(VALU_DEP_4) | instskip(NEXT) | instid1(VALU_DEP_3)
	v_add_co_ci_u32_e32 v5, vcc_lo, v1, v5, vcc_lo
	v_lshl_or_b32 v6, v6, 16, v7
	global_store_b32 v[4:5], v6, off
	global_load_b32 v5, v33, s[8:9] offset:896
	ds_load_2addr_b32 v[3:4], v3 offset0:96 offset1:128
	s_wait_dscnt 0x0
	v_lshrrev_b32_e32 v6, 16, v3
	s_wait_loadcnt 0x0
	v_lshrrev_b32_e32 v7, 16, v5
	s_delay_alu instid0(VALU_DEP_1) | instskip(SKIP_1) | instid1(VALU_DEP_2)
	v_mul_f16_e32 v8, v6, v7
	v_mul_f16_e32 v7, v3, v7
	v_fmac_f16_e32 v8, v3, v5
	s_delay_alu instid0(VALU_DEP_2) | instskip(NEXT) | instid1(VALU_DEP_2)
	v_fma_f16 v3, v5, v6, -v7
	v_cvt_f32_f16_e32 v5, v8
	s_delay_alu instid0(VALU_DEP_2) | instskip(NEXT) | instid1(VALU_DEP_2)
	v_cvt_f32_f16_e32 v3, v3
	v_cvt_f64_f32_e32 v[5:6], v5
	s_delay_alu instid0(VALU_DEP_2) | instskip(NEXT) | instid1(VALU_DEP_2)
	v_cvt_f64_f32_e32 v[7:8], v3
	v_mul_f64_e32 v[5:6], s[10:11], v[5:6]
	s_delay_alu instid0(VALU_DEP_2) | instskip(NEXT) | instid1(VALU_DEP_2)
	v_mul_f64_e32 v[7:8], s[10:11], v[7:8]
	v_and_or_b32 v3, 0x1ff, v6, v5
	s_delay_alu instid0(VALU_DEP_2)
	v_and_or_b32 v7, 0x1ff, v8, v7
	v_lshrrev_b32_e32 v5, 8, v6
	v_bfe_u32 v11, v6, 20, 11
	v_lshrrev_b32_e32 v9, 8, v8
	v_cmp_ne_u32_e32 vcc_lo, 0, v3
	v_bfe_u32 v12, v8, 20, 11
	v_lshrrev_b32_e32 v6, 16, v6
	v_sub_nc_u32_e32 v10, 0x3f1, v11
	v_lshrrev_b32_e32 v8, 16, v8
	s_wait_alu 0xfffd
	v_cndmask_b32_e64 v3, 0, 1, vcc_lo
	v_cmp_ne_u32_e32 vcc_lo, 0, v7
	v_sub_nc_u32_e32 v13, 0x3f1, v12
	v_add_nc_u32_e32 v12, 0xfffffc10, v12
	s_delay_alu instid0(VALU_DEP_4)
	v_and_or_b32 v5, 0xffe, v5, v3
	s_wait_alu 0xfffd
	v_cndmask_b32_e64 v7, 0, 1, vcc_lo
	v_med3_i32 v3, v10, 0, 13
	v_med3_i32 v13, v13, 0, 13
	v_or_b32_e32 v14, 0x1000, v5
	s_delay_alu instid0(VALU_DEP_4) | instskip(SKIP_1) | instid1(VALU_DEP_3)
	v_and_or_b32 v7, 0xffe, v9, v7
	v_mad_co_u64_u32 v[9:10], null, s4, v42, 0
	v_lshrrev_b32_e32 v16, v3, v14
	s_delay_alu instid0(VALU_DEP_3) | instskip(NEXT) | instid1(VALU_DEP_2)
	v_or_b32_e32 v15, 0x1000, v7
	v_lshlrev_b32_e32 v18, v3, v16
	s_delay_alu instid0(VALU_DEP_2) | instskip(SKIP_1) | instid1(VALU_DEP_3)
	v_lshrrev_b32_e32 v17, v13, v15
	v_mov_b32_e32 v3, v10
	v_cmp_ne_u32_e32 vcc_lo, v18, v14
	s_delay_alu instid0(VALU_DEP_3) | instskip(SKIP_3) | instid1(VALU_DEP_3)
	v_lshlrev_b32_e32 v10, v13, v17
	v_add_nc_u32_e32 v13, 0xfffffc10, v11
	s_wait_alu 0xfffd
	v_cndmask_b32_e64 v14, 0, 1, vcc_lo
	v_cmp_ne_u32_e32 vcc_lo, v10, v15
	v_mad_co_u64_u32 v[10:11], null, s5, v42, v[3:4]
	v_lshl_or_b32 v3, v13, 12, v5
	s_delay_alu instid0(VALU_DEP_4) | instskip(SKIP_4) | instid1(VALU_DEP_3)
	v_or_b32_e32 v11, v16, v14
	s_wait_alu 0xfffd
	v_cndmask_b32_e64 v15, 0, 1, vcc_lo
	v_cmp_gt_i32_e32 vcc_lo, 1, v13
	v_lshl_or_b32 v14, v12, 12, v7
	v_or_b32_e32 v15, v17, v15
	s_wait_alu 0xfffd
	v_cndmask_b32_e32 v3, v3, v11, vcc_lo
	v_cmp_gt_i32_e32 vcc_lo, 1, v12
	s_wait_alu 0xfffd
	v_cndmask_b32_e32 v11, v14, v15, vcc_lo
	v_cmp_ne_u32_e32 vcc_lo, 0, v5
	v_and_b32_e32 v14, 7, v3
	v_lshrrev_b32_e32 v3, 2, v3
	s_delay_alu instid0(VALU_DEP_4)
	v_and_b32_e32 v15, 7, v11
	s_wait_alu 0xfffd
	v_cndmask_b32_e64 v5, 0, 1, vcc_lo
	v_cmp_ne_u32_e32 vcc_lo, 0, v7
	v_cmp_eq_u32_e64 s0, 3, v14
	v_lshrrev_b32_e32 v11, 2, v11
	v_cmp_lt_i32_e64 s1, 5, v15
	v_cmp_eq_u32_e64 s2, 3, v15
	s_wait_alu 0xfffd
	v_cndmask_b32_e64 v7, 0, 1, vcc_lo
	v_cmp_lt_i32_e32 vcc_lo, 5, v14
	v_lshl_or_b32 v5, v5, 9, 0x7c00
	s_delay_alu instid0(VALU_DEP_3)
	v_lshl_or_b32 v7, v7, 9, 0x7c00
	s_or_b32 vcc_lo, s0, vcc_lo
	s_wait_alu 0xfffe
	v_add_co_ci_u32_e32 v3, vcc_lo, 0, v3, vcc_lo
	s_or_b32 vcc_lo, s2, s1
	s_wait_alu 0xfffe
	v_add_co_ci_u32_e32 v11, vcc_lo, 0, v11, vcc_lo
	v_cmp_gt_i32_e32 vcc_lo, 31, v13
	s_wait_alu 0xfffd
	v_cndmask_b32_e32 v3, 0x7c00, v3, vcc_lo
	v_cmp_gt_i32_e32 vcc_lo, 31, v12
	s_wait_alu 0xfffd
	v_cndmask_b32_e32 v11, 0x7c00, v11, vcc_lo
	v_cmp_eq_u32_e32 vcc_lo, 0x40f, v13
	s_wait_alu 0xfffd
	v_cndmask_b32_e32 v3, v3, v5, vcc_lo
	v_cmp_eq_u32_e32 vcc_lo, 0x40f, v12
	s_delay_alu instid0(VALU_DEP_2) | instskip(SKIP_3) | instid1(VALU_DEP_3)
	v_and_or_b32 v3, 0x8000, v6, v3
	s_wait_alu 0xfffd
	v_cndmask_b32_e32 v7, v11, v7, vcc_lo
	v_lshlrev_b64_e32 v[5:6], 2, v[9:10]
	v_and_b32_e32 v3, 0xffff, v3
	s_delay_alu instid0(VALU_DEP_3) | instskip(NEXT) | instid1(VALU_DEP_3)
	v_and_or_b32 v7, 0x8000, v8, v7
	v_add_co_u32 v5, vcc_lo, v0, v5
	s_wait_alu 0xfffd
	s_delay_alu instid0(VALU_DEP_4) | instskip(NEXT) | instid1(VALU_DEP_3)
	v_add_co_ci_u32_e32 v6, vcc_lo, v1, v6, vcc_lo
	v_lshl_or_b32 v3, v7, 16, v3
	global_store_b32 v[5:6], v3, off
	global_load_b32 v3, v33, s[8:9] offset:1024
	v_lshrrev_b32_e32 v5, 16, v4
	s_wait_loadcnt 0x0
	v_lshrrev_b32_e32 v6, 16, v3
	s_delay_alu instid0(VALU_DEP_1) | instskip(SKIP_1) | instid1(VALU_DEP_2)
	v_mul_f16_e32 v7, v5, v6
	v_mul_f16_e32 v6, v4, v6
	v_fmac_f16_e32 v7, v4, v3
	s_delay_alu instid0(VALU_DEP_2) | instskip(NEXT) | instid1(VALU_DEP_2)
	v_fma_f16 v3, v3, v5, -v6
	v_cvt_f32_f16_e32 v4, v7
	s_delay_alu instid0(VALU_DEP_2) | instskip(NEXT) | instid1(VALU_DEP_2)
	v_cvt_f32_f16_e32 v5, v3
	v_cvt_f64_f32_e32 v[3:4], v4
	s_delay_alu instid0(VALU_DEP_2) | instskip(NEXT) | instid1(VALU_DEP_2)
	v_cvt_f64_f32_e32 v[5:6], v5
	v_mul_f64_e32 v[3:4], s[10:11], v[3:4]
	s_delay_alu instid0(VALU_DEP_2) | instskip(NEXT) | instid1(VALU_DEP_2)
	v_mul_f64_e32 v[5:6], s[10:11], v[5:6]
	v_and_or_b32 v3, 0x1ff, v4, v3
	s_delay_alu instid0(VALU_DEP_2)
	v_and_or_b32 v5, 0x1ff, v6, v5
	v_lshrrev_b32_e32 v7, 8, v4
	v_bfe_u32 v9, v4, 20, 11
	v_bfe_u32 v10, v6, 20, 11
	v_cmp_ne_u32_e32 vcc_lo, 0, v3
	v_lshrrev_b32_e32 v8, 8, v6
	v_lshrrev_b32_e32 v6, 16, v6
	v_sub_nc_u32_e32 v11, 0x3f1, v9
	v_sub_nc_u32_e32 v12, 0x3f1, v10
	s_wait_alu 0xfffd
	v_cndmask_b32_e64 v3, 0, 1, vcc_lo
	v_cmp_ne_u32_e32 vcc_lo, 0, v5
	v_add_nc_u32_e32 v10, 0xfffffc10, v10
	s_delay_alu instid0(VALU_DEP_3)
	v_and_or_b32 v13, 0xffe, v7, v3
	s_wait_alu 0xfffd
	v_cndmask_b32_e64 v5, 0, 1, vcc_lo
	v_med3_i32 v3, v11, 0, 13
	v_med3_i32 v11, v12, 0, 13
	v_or_b32_e32 v12, 0x1000, v13
	s_delay_alu instid0(VALU_DEP_4) | instskip(SKIP_1) | instid1(VALU_DEP_3)
	v_and_or_b32 v5, 0xffe, v8, v5
	v_mad_co_u64_u32 v[7:8], null, s4, v41, 0
	v_lshrrev_b32_e32 v15, v3, v12
	s_delay_alu instid0(VALU_DEP_3) | instskip(NEXT) | instid1(VALU_DEP_2)
	v_or_b32_e32 v14, 0x1000, v5
	v_lshlrev_b32_e32 v17, v3, v15
	s_delay_alu instid0(VALU_DEP_2) | instskip(SKIP_1) | instid1(VALU_DEP_3)
	v_lshrrev_b32_e32 v16, v11, v14
	v_mov_b32_e32 v3, v8
	v_cmp_ne_u32_e32 vcc_lo, v17, v12
	s_delay_alu instid0(VALU_DEP_3) | instskip(SKIP_3) | instid1(VALU_DEP_3)
	v_lshlrev_b32_e32 v8, v11, v16
	v_add_nc_u32_e32 v11, 0xfffffc10, v9
	s_wait_alu 0xfffd
	v_cndmask_b32_e64 v12, 0, 1, vcc_lo
	v_cmp_ne_u32_e32 vcc_lo, v8, v14
	v_mad_co_u64_u32 v[8:9], null, s5, v41, v[3:4]
	v_lshl_or_b32 v3, v11, 12, v13
	s_delay_alu instid0(VALU_DEP_4)
	v_or_b32_e32 v9, v15, v12
	s_wait_alu 0xfffd
	v_cndmask_b32_e64 v14, 0, 1, vcc_lo
	v_cmp_gt_i32_e32 vcc_lo, 1, v11
	v_lshl_or_b32 v12, v10, 12, v5
	v_lshrrev_b32_e32 v4, 16, v4
	s_delay_alu instid0(VALU_DEP_4)
	v_or_b32_e32 v14, v16, v14
	s_wait_alu 0xfffd
	v_cndmask_b32_e32 v3, v3, v9, vcc_lo
	v_cmp_gt_i32_e32 vcc_lo, 1, v10
	s_wait_alu 0xfffd
	v_cndmask_b32_e32 v9, v12, v14, vcc_lo
	v_cmp_ne_u32_e32 vcc_lo, 0, v13
	v_and_b32_e32 v13, 7, v3
	v_lshrrev_b32_e32 v3, 2, v3
	s_delay_alu instid0(VALU_DEP_4)
	v_and_b32_e32 v14, 7, v9
	s_wait_alu 0xfffd
	v_cndmask_b32_e64 v12, 0, 1, vcc_lo
	v_cmp_ne_u32_e32 vcc_lo, 0, v5
	v_cmp_eq_u32_e64 s0, 3, v13
	v_lshrrev_b32_e32 v9, 2, v9
	v_cmp_lt_i32_e64 s1, 5, v14
	v_cmp_eq_u32_e64 s2, 3, v14
	s_wait_alu 0xfffd
	v_cndmask_b32_e64 v5, 0, 1, vcc_lo
	v_cmp_lt_i32_e32 vcc_lo, 5, v13
	v_lshl_or_b32 v12, v12, 9, 0x7c00
	s_delay_alu instid0(VALU_DEP_3)
	v_lshl_or_b32 v5, v5, 9, 0x7c00
	s_or_b32 vcc_lo, s0, vcc_lo
	s_wait_alu 0xfffe
	v_add_co_ci_u32_e32 v3, vcc_lo, 0, v3, vcc_lo
	s_or_b32 vcc_lo, s2, s1
	s_wait_alu 0xfffe
	v_add_co_ci_u32_e32 v9, vcc_lo, 0, v9, vcc_lo
	v_cmp_gt_i32_e32 vcc_lo, 31, v11
	s_wait_alu 0xfffd
	v_cndmask_b32_e32 v3, 0x7c00, v3, vcc_lo
	v_cmp_gt_i32_e32 vcc_lo, 31, v10
	s_wait_alu 0xfffd
	v_cndmask_b32_e32 v9, 0x7c00, v9, vcc_lo
	v_cmp_eq_u32_e32 vcc_lo, 0x40f, v11
	s_wait_alu 0xfffd
	v_cndmask_b32_e32 v3, v3, v12, vcc_lo
	v_cmp_eq_u32_e32 vcc_lo, 0x40f, v10
	s_wait_alu 0xfffd
	v_cndmask_b32_e32 v5, v9, v5, vcc_lo
	s_delay_alu instid0(VALU_DEP_3) | instskip(SKIP_1) | instid1(VALU_DEP_3)
	v_and_or_b32 v9, 0x8000, v4, v3
	v_lshlrev_b64_e32 v[3:4], 2, v[7:8]
	v_and_or_b32 v5, 0x8000, v6, v5
	s_delay_alu instid0(VALU_DEP_3) | instskip(NEXT) | instid1(VALU_DEP_3)
	v_and_b32_e32 v6, 0xffff, v9
	v_add_co_u32 v3, vcc_lo, v0, v3
	s_wait_alu 0xfffd
	s_delay_alu instid0(VALU_DEP_4) | instskip(NEXT) | instid1(VALU_DEP_3)
	v_add_co_ci_u32_e32 v4, vcc_lo, v1, v4, vcc_lo
	v_lshl_or_b32 v5, v5, 16, v6
	global_store_b32 v[3:4], v5, off
	global_load_b32 v5, v33, s[8:9] offset:1152
	ds_load_2addr_b32 v[3:4], v2 offset0:32 offset1:64
	s_wait_dscnt 0x0
	v_lshrrev_b32_e32 v6, 16, v3
	s_wait_loadcnt 0x0
	v_lshrrev_b32_e32 v7, 16, v5
	s_delay_alu instid0(VALU_DEP_1) | instskip(SKIP_1) | instid1(VALU_DEP_2)
	v_mul_f16_e32 v8, v6, v7
	v_mul_f16_e32 v7, v3, v7
	v_fmac_f16_e32 v8, v3, v5
	s_delay_alu instid0(VALU_DEP_2) | instskip(NEXT) | instid1(VALU_DEP_2)
	v_fma_f16 v3, v5, v6, -v7
	v_cvt_f32_f16_e32 v5, v8
	s_delay_alu instid0(VALU_DEP_2) | instskip(NEXT) | instid1(VALU_DEP_2)
	v_cvt_f32_f16_e32 v3, v3
	v_cvt_f64_f32_e32 v[5:6], v5
	s_delay_alu instid0(VALU_DEP_2) | instskip(NEXT) | instid1(VALU_DEP_2)
	v_cvt_f64_f32_e32 v[7:8], v3
	v_mul_f64_e32 v[5:6], s[10:11], v[5:6]
	s_delay_alu instid0(VALU_DEP_2) | instskip(NEXT) | instid1(VALU_DEP_2)
	v_mul_f64_e32 v[7:8], s[10:11], v[7:8]
	v_and_or_b32 v3, 0x1ff, v6, v5
	s_delay_alu instid0(VALU_DEP_2)
	v_and_or_b32 v7, 0x1ff, v8, v7
	v_lshrrev_b32_e32 v5, 8, v6
	v_bfe_u32 v11, v6, 20, 11
	v_lshrrev_b32_e32 v9, 8, v8
	v_cmp_ne_u32_e32 vcc_lo, 0, v3
	v_bfe_u32 v12, v8, 20, 11
	v_lshrrev_b32_e32 v6, 16, v6
	v_sub_nc_u32_e32 v10, 0x3f1, v11
	v_lshrrev_b32_e32 v8, 16, v8
	s_wait_alu 0xfffd
	v_cndmask_b32_e64 v3, 0, 1, vcc_lo
	v_cmp_ne_u32_e32 vcc_lo, 0, v7
	v_sub_nc_u32_e32 v13, 0x3f1, v12
	v_add_nc_u32_e32 v12, 0xfffffc10, v12
	s_delay_alu instid0(VALU_DEP_4)
	v_and_or_b32 v5, 0xffe, v5, v3
	s_wait_alu 0xfffd
	v_cndmask_b32_e64 v7, 0, 1, vcc_lo
	v_med3_i32 v3, v10, 0, 13
	v_med3_i32 v13, v13, 0, 13
	v_or_b32_e32 v14, 0x1000, v5
	s_delay_alu instid0(VALU_DEP_4) | instskip(SKIP_1) | instid1(VALU_DEP_3)
	v_and_or_b32 v7, 0xffe, v9, v7
	v_mad_co_u64_u32 v[9:10], null, s4, v40, 0
	v_lshrrev_b32_e32 v16, v3, v14
	s_delay_alu instid0(VALU_DEP_3) | instskip(NEXT) | instid1(VALU_DEP_2)
	v_or_b32_e32 v15, 0x1000, v7
	v_lshlrev_b32_e32 v18, v3, v16
	s_delay_alu instid0(VALU_DEP_2) | instskip(SKIP_1) | instid1(VALU_DEP_3)
	v_lshrrev_b32_e32 v17, v13, v15
	v_mov_b32_e32 v3, v10
	v_cmp_ne_u32_e32 vcc_lo, v18, v14
	s_delay_alu instid0(VALU_DEP_3) | instskip(SKIP_3) | instid1(VALU_DEP_3)
	v_lshlrev_b32_e32 v10, v13, v17
	v_add_nc_u32_e32 v13, 0xfffffc10, v11
	s_wait_alu 0xfffd
	v_cndmask_b32_e64 v14, 0, 1, vcc_lo
	v_cmp_ne_u32_e32 vcc_lo, v10, v15
	v_mad_co_u64_u32 v[10:11], null, s5, v40, v[3:4]
	v_lshl_or_b32 v3, v13, 12, v5
	s_delay_alu instid0(VALU_DEP_4) | instskip(SKIP_4) | instid1(VALU_DEP_3)
	v_or_b32_e32 v11, v16, v14
	s_wait_alu 0xfffd
	v_cndmask_b32_e64 v15, 0, 1, vcc_lo
	v_cmp_gt_i32_e32 vcc_lo, 1, v13
	v_lshl_or_b32 v14, v12, 12, v7
	v_or_b32_e32 v15, v17, v15
	s_wait_alu 0xfffd
	v_cndmask_b32_e32 v3, v3, v11, vcc_lo
	v_cmp_gt_i32_e32 vcc_lo, 1, v12
	s_wait_alu 0xfffd
	v_cndmask_b32_e32 v11, v14, v15, vcc_lo
	v_cmp_ne_u32_e32 vcc_lo, 0, v5
	v_and_b32_e32 v14, 7, v3
	v_lshrrev_b32_e32 v3, 2, v3
	s_delay_alu instid0(VALU_DEP_4)
	v_and_b32_e32 v15, 7, v11
	s_wait_alu 0xfffd
	v_cndmask_b32_e64 v5, 0, 1, vcc_lo
	v_cmp_ne_u32_e32 vcc_lo, 0, v7
	v_cmp_eq_u32_e64 s0, 3, v14
	v_lshrrev_b32_e32 v11, 2, v11
	v_cmp_lt_i32_e64 s1, 5, v15
	v_cmp_eq_u32_e64 s2, 3, v15
	s_wait_alu 0xfffd
	v_cndmask_b32_e64 v7, 0, 1, vcc_lo
	v_cmp_lt_i32_e32 vcc_lo, 5, v14
	v_lshl_or_b32 v5, v5, 9, 0x7c00
	s_delay_alu instid0(VALU_DEP_3)
	v_lshl_or_b32 v7, v7, 9, 0x7c00
	s_or_b32 vcc_lo, s0, vcc_lo
	s_wait_alu 0xfffe
	v_add_co_ci_u32_e32 v3, vcc_lo, 0, v3, vcc_lo
	s_or_b32 vcc_lo, s2, s1
	s_wait_alu 0xfffe
	v_add_co_ci_u32_e32 v11, vcc_lo, 0, v11, vcc_lo
	v_cmp_gt_i32_e32 vcc_lo, 31, v13
	s_wait_alu 0xfffd
	v_cndmask_b32_e32 v3, 0x7c00, v3, vcc_lo
	v_cmp_gt_i32_e32 vcc_lo, 31, v12
	s_wait_alu 0xfffd
	v_cndmask_b32_e32 v11, 0x7c00, v11, vcc_lo
	v_cmp_eq_u32_e32 vcc_lo, 0x40f, v13
	s_wait_alu 0xfffd
	v_cndmask_b32_e32 v3, v3, v5, vcc_lo
	v_cmp_eq_u32_e32 vcc_lo, 0x40f, v12
	s_delay_alu instid0(VALU_DEP_2) | instskip(SKIP_3) | instid1(VALU_DEP_3)
	v_and_or_b32 v3, 0x8000, v6, v3
	s_wait_alu 0xfffd
	v_cndmask_b32_e32 v7, v11, v7, vcc_lo
	v_lshlrev_b64_e32 v[5:6], 2, v[9:10]
	v_and_b32_e32 v3, 0xffff, v3
	s_delay_alu instid0(VALU_DEP_3) | instskip(NEXT) | instid1(VALU_DEP_3)
	v_and_or_b32 v7, 0x8000, v8, v7
	v_add_co_u32 v5, vcc_lo, v0, v5
	s_wait_alu 0xfffd
	s_delay_alu instid0(VALU_DEP_4) | instskip(NEXT) | instid1(VALU_DEP_3)
	v_add_co_ci_u32_e32 v6, vcc_lo, v1, v6, vcc_lo
	v_lshl_or_b32 v3, v7, 16, v3
	global_store_b32 v[5:6], v3, off
	global_load_b32 v3, v33, s[8:9] offset:1280
	v_lshrrev_b32_e32 v5, 16, v4
	s_wait_loadcnt 0x0
	v_lshrrev_b32_e32 v6, 16, v3
	s_delay_alu instid0(VALU_DEP_1) | instskip(SKIP_1) | instid1(VALU_DEP_2)
	v_mul_f16_e32 v7, v5, v6
	v_mul_f16_e32 v6, v4, v6
	v_fmac_f16_e32 v7, v4, v3
	s_delay_alu instid0(VALU_DEP_2) | instskip(NEXT) | instid1(VALU_DEP_2)
	v_fma_f16 v3, v3, v5, -v6
	v_cvt_f32_f16_e32 v4, v7
	s_delay_alu instid0(VALU_DEP_2) | instskip(NEXT) | instid1(VALU_DEP_2)
	v_cvt_f32_f16_e32 v5, v3
	v_cvt_f64_f32_e32 v[3:4], v4
	s_delay_alu instid0(VALU_DEP_2) | instskip(NEXT) | instid1(VALU_DEP_2)
	v_cvt_f64_f32_e32 v[5:6], v5
	v_mul_f64_e32 v[3:4], s[10:11], v[3:4]
	s_delay_alu instid0(VALU_DEP_2) | instskip(NEXT) | instid1(VALU_DEP_2)
	v_mul_f64_e32 v[5:6], s[10:11], v[5:6]
	v_and_or_b32 v3, 0x1ff, v4, v3
	s_delay_alu instid0(VALU_DEP_2)
	v_and_or_b32 v5, 0x1ff, v6, v5
	v_lshrrev_b32_e32 v7, 8, v4
	v_bfe_u32 v9, v4, 20, 11
	v_bfe_u32 v10, v6, 20, 11
	v_cmp_ne_u32_e32 vcc_lo, 0, v3
	v_lshrrev_b32_e32 v8, 8, v6
	v_lshrrev_b32_e32 v6, 16, v6
	v_sub_nc_u32_e32 v11, 0x3f1, v9
	v_sub_nc_u32_e32 v12, 0x3f1, v10
	s_wait_alu 0xfffd
	v_cndmask_b32_e64 v3, 0, 1, vcc_lo
	v_cmp_ne_u32_e32 vcc_lo, 0, v5
	v_add_nc_u32_e32 v10, 0xfffffc10, v10
	s_delay_alu instid0(VALU_DEP_3)
	v_and_or_b32 v13, 0xffe, v7, v3
	s_wait_alu 0xfffd
	v_cndmask_b32_e64 v5, 0, 1, vcc_lo
	v_med3_i32 v3, v11, 0, 13
	v_med3_i32 v11, v12, 0, 13
	v_or_b32_e32 v12, 0x1000, v13
	s_delay_alu instid0(VALU_DEP_4) | instskip(SKIP_1) | instid1(VALU_DEP_3)
	v_and_or_b32 v5, 0xffe, v8, v5
	v_mad_co_u64_u32 v[7:8], null, s4, v39, 0
	v_lshrrev_b32_e32 v15, v3, v12
	s_delay_alu instid0(VALU_DEP_3) | instskip(NEXT) | instid1(VALU_DEP_2)
	v_or_b32_e32 v14, 0x1000, v5
	v_lshlrev_b32_e32 v17, v3, v15
	s_delay_alu instid0(VALU_DEP_2) | instskip(SKIP_1) | instid1(VALU_DEP_3)
	v_lshrrev_b32_e32 v16, v11, v14
	v_mov_b32_e32 v3, v8
	v_cmp_ne_u32_e32 vcc_lo, v17, v12
	s_delay_alu instid0(VALU_DEP_3) | instskip(SKIP_3) | instid1(VALU_DEP_3)
	v_lshlrev_b32_e32 v8, v11, v16
	v_add_nc_u32_e32 v11, 0xfffffc10, v9
	s_wait_alu 0xfffd
	v_cndmask_b32_e64 v12, 0, 1, vcc_lo
	v_cmp_ne_u32_e32 vcc_lo, v8, v14
	v_mad_co_u64_u32 v[8:9], null, s5, v39, v[3:4]
	v_lshl_or_b32 v3, v11, 12, v13
	s_delay_alu instid0(VALU_DEP_4)
	v_or_b32_e32 v9, v15, v12
	s_wait_alu 0xfffd
	v_cndmask_b32_e64 v14, 0, 1, vcc_lo
	v_cmp_gt_i32_e32 vcc_lo, 1, v11
	v_lshl_or_b32 v12, v10, 12, v5
	v_lshrrev_b32_e32 v4, 16, v4
	s_delay_alu instid0(VALU_DEP_4)
	v_or_b32_e32 v14, v16, v14
	s_wait_alu 0xfffd
	v_cndmask_b32_e32 v3, v3, v9, vcc_lo
	v_cmp_gt_i32_e32 vcc_lo, 1, v10
	s_wait_alu 0xfffd
	v_cndmask_b32_e32 v9, v12, v14, vcc_lo
	v_cmp_ne_u32_e32 vcc_lo, 0, v13
	v_and_b32_e32 v13, 7, v3
	v_lshrrev_b32_e32 v3, 2, v3
	s_delay_alu instid0(VALU_DEP_4)
	v_and_b32_e32 v14, 7, v9
	s_wait_alu 0xfffd
	v_cndmask_b32_e64 v12, 0, 1, vcc_lo
	v_cmp_ne_u32_e32 vcc_lo, 0, v5
	v_cmp_eq_u32_e64 s0, 3, v13
	v_lshrrev_b32_e32 v9, 2, v9
	v_cmp_lt_i32_e64 s1, 5, v14
	v_cmp_eq_u32_e64 s2, 3, v14
	s_wait_alu 0xfffd
	v_cndmask_b32_e64 v5, 0, 1, vcc_lo
	v_cmp_lt_i32_e32 vcc_lo, 5, v13
	v_lshl_or_b32 v12, v12, 9, 0x7c00
	s_delay_alu instid0(VALU_DEP_3)
	v_lshl_or_b32 v5, v5, 9, 0x7c00
	s_or_b32 vcc_lo, s0, vcc_lo
	s_wait_alu 0xfffe
	v_add_co_ci_u32_e32 v3, vcc_lo, 0, v3, vcc_lo
	s_or_b32 vcc_lo, s2, s1
	s_wait_alu 0xfffe
	v_add_co_ci_u32_e32 v9, vcc_lo, 0, v9, vcc_lo
	v_cmp_gt_i32_e32 vcc_lo, 31, v11
	s_wait_alu 0xfffd
	v_cndmask_b32_e32 v3, 0x7c00, v3, vcc_lo
	v_cmp_gt_i32_e32 vcc_lo, 31, v10
	s_wait_alu 0xfffd
	v_cndmask_b32_e32 v9, 0x7c00, v9, vcc_lo
	v_cmp_eq_u32_e32 vcc_lo, 0x40f, v11
	s_wait_alu 0xfffd
	v_cndmask_b32_e32 v3, v3, v12, vcc_lo
	v_cmp_eq_u32_e32 vcc_lo, 0x40f, v10
	s_wait_alu 0xfffd
	v_cndmask_b32_e32 v5, v9, v5, vcc_lo
	s_delay_alu instid0(VALU_DEP_3) | instskip(SKIP_1) | instid1(VALU_DEP_3)
	v_and_or_b32 v9, 0x8000, v4, v3
	v_lshlrev_b64_e32 v[3:4], 2, v[7:8]
	v_and_or_b32 v5, 0x8000, v6, v5
	s_delay_alu instid0(VALU_DEP_3) | instskip(NEXT) | instid1(VALU_DEP_3)
	v_and_b32_e32 v6, 0xffff, v9
	v_add_co_u32 v3, vcc_lo, v0, v3
	s_wait_alu 0xfffd
	s_delay_alu instid0(VALU_DEP_4) | instskip(NEXT) | instid1(VALU_DEP_3)
	v_add_co_ci_u32_e32 v4, vcc_lo, v1, v4, vcc_lo
	v_lshl_or_b32 v5, v5, 16, v6
	global_store_b32 v[3:4], v5, off
	global_load_b32 v5, v33, s[8:9] offset:1408
	ds_load_2addr_b32 v[3:4], v2 offset0:96 offset1:128
	s_wait_dscnt 0x0
	v_lshrrev_b32_e32 v6, 16, v3
	s_wait_loadcnt 0x0
	v_lshrrev_b32_e32 v7, 16, v5
	s_delay_alu instid0(VALU_DEP_1) | instskip(SKIP_1) | instid1(VALU_DEP_2)
	v_mul_f16_e32 v8, v6, v7
	v_mul_f16_e32 v7, v3, v7
	v_fmac_f16_e32 v8, v3, v5
	s_delay_alu instid0(VALU_DEP_2) | instskip(NEXT) | instid1(VALU_DEP_2)
	v_fma_f16 v3, v5, v6, -v7
	v_cvt_f32_f16_e32 v5, v8
	s_delay_alu instid0(VALU_DEP_2) | instskip(NEXT) | instid1(VALU_DEP_2)
	v_cvt_f32_f16_e32 v3, v3
	v_cvt_f64_f32_e32 v[5:6], v5
	s_delay_alu instid0(VALU_DEP_2) | instskip(NEXT) | instid1(VALU_DEP_2)
	v_cvt_f64_f32_e32 v[7:8], v3
	v_mul_f64_e32 v[5:6], s[10:11], v[5:6]
	s_delay_alu instid0(VALU_DEP_2) | instskip(NEXT) | instid1(VALU_DEP_2)
	v_mul_f64_e32 v[7:8], s[10:11], v[7:8]
	v_and_or_b32 v3, 0x1ff, v6, v5
	s_delay_alu instid0(VALU_DEP_2)
	v_and_or_b32 v7, 0x1ff, v8, v7
	v_lshrrev_b32_e32 v5, 8, v6
	v_bfe_u32 v11, v6, 20, 11
	v_lshrrev_b32_e32 v9, 8, v8
	v_cmp_ne_u32_e32 vcc_lo, 0, v3
	v_bfe_u32 v12, v8, 20, 11
	v_lshrrev_b32_e32 v6, 16, v6
	v_sub_nc_u32_e32 v10, 0x3f1, v11
	v_lshrrev_b32_e32 v8, 16, v8
	s_wait_alu 0xfffd
	v_cndmask_b32_e64 v3, 0, 1, vcc_lo
	v_cmp_ne_u32_e32 vcc_lo, 0, v7
	v_sub_nc_u32_e32 v13, 0x3f1, v12
	v_add_nc_u32_e32 v12, 0xfffffc10, v12
	s_delay_alu instid0(VALU_DEP_4)
	v_and_or_b32 v5, 0xffe, v5, v3
	s_wait_alu 0xfffd
	v_cndmask_b32_e64 v7, 0, 1, vcc_lo
	v_med3_i32 v3, v10, 0, 13
	v_med3_i32 v13, v13, 0, 13
	v_or_b32_e32 v14, 0x1000, v5
	s_delay_alu instid0(VALU_DEP_4) | instskip(SKIP_1) | instid1(VALU_DEP_3)
	v_and_or_b32 v7, 0xffe, v9, v7
	v_mad_co_u64_u32 v[9:10], null, s4, v38, 0
	v_lshrrev_b32_e32 v16, v3, v14
	s_delay_alu instid0(VALU_DEP_3) | instskip(NEXT) | instid1(VALU_DEP_2)
	v_or_b32_e32 v15, 0x1000, v7
	v_lshlrev_b32_e32 v18, v3, v16
	s_delay_alu instid0(VALU_DEP_2) | instskip(SKIP_1) | instid1(VALU_DEP_3)
	v_lshrrev_b32_e32 v17, v13, v15
	v_mov_b32_e32 v3, v10
	v_cmp_ne_u32_e32 vcc_lo, v18, v14
	s_delay_alu instid0(VALU_DEP_3) | instskip(SKIP_3) | instid1(VALU_DEP_3)
	v_lshlrev_b32_e32 v10, v13, v17
	v_add_nc_u32_e32 v13, 0xfffffc10, v11
	s_wait_alu 0xfffd
	v_cndmask_b32_e64 v14, 0, 1, vcc_lo
	v_cmp_ne_u32_e32 vcc_lo, v10, v15
	v_mad_co_u64_u32 v[10:11], null, s5, v38, v[3:4]
	v_lshl_or_b32 v3, v13, 12, v5
	s_delay_alu instid0(VALU_DEP_4) | instskip(SKIP_4) | instid1(VALU_DEP_3)
	v_or_b32_e32 v11, v16, v14
	s_wait_alu 0xfffd
	v_cndmask_b32_e64 v15, 0, 1, vcc_lo
	v_cmp_gt_i32_e32 vcc_lo, 1, v13
	v_lshl_or_b32 v14, v12, 12, v7
	v_or_b32_e32 v15, v17, v15
	s_wait_alu 0xfffd
	v_cndmask_b32_e32 v3, v3, v11, vcc_lo
	v_cmp_gt_i32_e32 vcc_lo, 1, v12
	s_wait_alu 0xfffd
	v_cndmask_b32_e32 v11, v14, v15, vcc_lo
	v_cmp_ne_u32_e32 vcc_lo, 0, v5
	v_and_b32_e32 v14, 7, v3
	v_lshrrev_b32_e32 v3, 2, v3
	s_delay_alu instid0(VALU_DEP_4)
	v_and_b32_e32 v15, 7, v11
	s_wait_alu 0xfffd
	v_cndmask_b32_e64 v5, 0, 1, vcc_lo
	v_cmp_ne_u32_e32 vcc_lo, 0, v7
	v_cmp_eq_u32_e64 s0, 3, v14
	v_lshrrev_b32_e32 v11, 2, v11
	v_cmp_lt_i32_e64 s1, 5, v15
	v_cmp_eq_u32_e64 s2, 3, v15
	s_wait_alu 0xfffd
	v_cndmask_b32_e64 v7, 0, 1, vcc_lo
	v_cmp_lt_i32_e32 vcc_lo, 5, v14
	v_lshl_or_b32 v5, v5, 9, 0x7c00
	s_delay_alu instid0(VALU_DEP_3)
	v_lshl_or_b32 v7, v7, 9, 0x7c00
	s_or_b32 vcc_lo, s0, vcc_lo
	s_wait_alu 0xfffe
	v_add_co_ci_u32_e32 v3, vcc_lo, 0, v3, vcc_lo
	s_or_b32 vcc_lo, s2, s1
	s_wait_alu 0xfffe
	v_add_co_ci_u32_e32 v11, vcc_lo, 0, v11, vcc_lo
	v_cmp_gt_i32_e32 vcc_lo, 31, v13
	s_wait_alu 0xfffd
	v_cndmask_b32_e32 v3, 0x7c00, v3, vcc_lo
	v_cmp_gt_i32_e32 vcc_lo, 31, v12
	s_wait_alu 0xfffd
	v_cndmask_b32_e32 v11, 0x7c00, v11, vcc_lo
	v_cmp_eq_u32_e32 vcc_lo, 0x40f, v13
	s_wait_alu 0xfffd
	v_cndmask_b32_e32 v3, v3, v5, vcc_lo
	v_cmp_eq_u32_e32 vcc_lo, 0x40f, v12
	s_delay_alu instid0(VALU_DEP_2) | instskip(SKIP_3) | instid1(VALU_DEP_3)
	v_and_or_b32 v3, 0x8000, v6, v3
	s_wait_alu 0xfffd
	v_cndmask_b32_e32 v7, v11, v7, vcc_lo
	v_lshlrev_b64_e32 v[5:6], 2, v[9:10]
	v_and_b32_e32 v3, 0xffff, v3
	s_delay_alu instid0(VALU_DEP_3) | instskip(NEXT) | instid1(VALU_DEP_3)
	v_and_or_b32 v7, 0x8000, v8, v7
	v_add_co_u32 v5, vcc_lo, v0, v5
	s_wait_alu 0xfffd
	s_delay_alu instid0(VALU_DEP_4) | instskip(NEXT) | instid1(VALU_DEP_3)
	v_add_co_ci_u32_e32 v6, vcc_lo, v1, v6, vcc_lo
	v_lshl_or_b32 v3, v7, 16, v3
	global_store_b32 v[5:6], v3, off
	global_load_b32 v3, v33, s[8:9] offset:1536
	v_lshrrev_b32_e32 v5, 16, v4
	s_wait_loadcnt 0x0
	v_lshrrev_b32_e32 v6, 16, v3
	s_delay_alu instid0(VALU_DEP_1) | instskip(SKIP_1) | instid1(VALU_DEP_2)
	v_mul_f16_e32 v7, v5, v6
	v_mul_f16_e32 v6, v4, v6
	v_fmac_f16_e32 v7, v4, v3
	s_delay_alu instid0(VALU_DEP_2) | instskip(NEXT) | instid1(VALU_DEP_2)
	v_fma_f16 v3, v3, v5, -v6
	v_cvt_f32_f16_e32 v4, v7
	s_delay_alu instid0(VALU_DEP_2) | instskip(NEXT) | instid1(VALU_DEP_2)
	v_cvt_f32_f16_e32 v5, v3
	v_cvt_f64_f32_e32 v[3:4], v4
	s_delay_alu instid0(VALU_DEP_2) | instskip(NEXT) | instid1(VALU_DEP_2)
	v_cvt_f64_f32_e32 v[5:6], v5
	v_mul_f64_e32 v[3:4], s[10:11], v[3:4]
	s_delay_alu instid0(VALU_DEP_2) | instskip(NEXT) | instid1(VALU_DEP_2)
	v_mul_f64_e32 v[5:6], s[10:11], v[5:6]
	v_and_or_b32 v3, 0x1ff, v4, v3
	s_delay_alu instid0(VALU_DEP_2)
	v_and_or_b32 v5, 0x1ff, v6, v5
	v_lshrrev_b32_e32 v7, 8, v4
	v_bfe_u32 v9, v4, 20, 11
	v_bfe_u32 v10, v6, 20, 11
	v_cmp_ne_u32_e32 vcc_lo, 0, v3
	v_lshrrev_b32_e32 v8, 8, v6
	v_lshrrev_b32_e32 v6, 16, v6
	v_sub_nc_u32_e32 v11, 0x3f1, v9
	v_sub_nc_u32_e32 v12, 0x3f1, v10
	s_wait_alu 0xfffd
	v_cndmask_b32_e64 v3, 0, 1, vcc_lo
	v_cmp_ne_u32_e32 vcc_lo, 0, v5
	v_add_nc_u32_e32 v10, 0xfffffc10, v10
	s_delay_alu instid0(VALU_DEP_3)
	v_and_or_b32 v13, 0xffe, v7, v3
	s_wait_alu 0xfffd
	v_cndmask_b32_e64 v5, 0, 1, vcc_lo
	v_med3_i32 v3, v11, 0, 13
	v_med3_i32 v11, v12, 0, 13
	v_or_b32_e32 v12, 0x1000, v13
	s_delay_alu instid0(VALU_DEP_4) | instskip(SKIP_1) | instid1(VALU_DEP_3)
	v_and_or_b32 v5, 0xffe, v8, v5
	v_mad_co_u64_u32 v[7:8], null, s4, v37, 0
	v_lshrrev_b32_e32 v15, v3, v12
	s_delay_alu instid0(VALU_DEP_3) | instskip(NEXT) | instid1(VALU_DEP_2)
	v_or_b32_e32 v14, 0x1000, v5
	v_lshlrev_b32_e32 v17, v3, v15
	s_delay_alu instid0(VALU_DEP_2) | instskip(SKIP_1) | instid1(VALU_DEP_3)
	v_lshrrev_b32_e32 v16, v11, v14
	v_mov_b32_e32 v3, v8
	v_cmp_ne_u32_e32 vcc_lo, v17, v12
	s_delay_alu instid0(VALU_DEP_3) | instskip(SKIP_3) | instid1(VALU_DEP_3)
	v_lshlrev_b32_e32 v8, v11, v16
	v_add_nc_u32_e32 v11, 0xfffffc10, v9
	s_wait_alu 0xfffd
	v_cndmask_b32_e64 v12, 0, 1, vcc_lo
	v_cmp_ne_u32_e32 vcc_lo, v8, v14
	v_mad_co_u64_u32 v[8:9], null, s5, v37, v[3:4]
	v_lshl_or_b32 v3, v11, 12, v13
	s_delay_alu instid0(VALU_DEP_4)
	v_or_b32_e32 v9, v15, v12
	s_wait_alu 0xfffd
	v_cndmask_b32_e64 v14, 0, 1, vcc_lo
	v_cmp_gt_i32_e32 vcc_lo, 1, v11
	v_lshl_or_b32 v12, v10, 12, v5
	v_lshrrev_b32_e32 v4, 16, v4
	s_delay_alu instid0(VALU_DEP_4)
	v_or_b32_e32 v14, v16, v14
	s_wait_alu 0xfffd
	v_cndmask_b32_e32 v3, v3, v9, vcc_lo
	v_cmp_gt_i32_e32 vcc_lo, 1, v10
	s_wait_alu 0xfffd
	v_cndmask_b32_e32 v9, v12, v14, vcc_lo
	v_cmp_ne_u32_e32 vcc_lo, 0, v13
	v_and_b32_e32 v13, 7, v3
	v_lshrrev_b32_e32 v3, 2, v3
	s_delay_alu instid0(VALU_DEP_4)
	v_and_b32_e32 v14, 7, v9
	s_wait_alu 0xfffd
	v_cndmask_b32_e64 v12, 0, 1, vcc_lo
	v_cmp_ne_u32_e32 vcc_lo, 0, v5
	v_cmp_eq_u32_e64 s0, 3, v13
	v_lshrrev_b32_e32 v9, 2, v9
	v_cmp_lt_i32_e64 s1, 5, v14
	v_cmp_eq_u32_e64 s2, 3, v14
	s_wait_alu 0xfffd
	v_cndmask_b32_e64 v5, 0, 1, vcc_lo
	v_cmp_lt_i32_e32 vcc_lo, 5, v13
	v_lshl_or_b32 v12, v12, 9, 0x7c00
	s_delay_alu instid0(VALU_DEP_3)
	v_lshl_or_b32 v5, v5, 9, 0x7c00
	s_or_b32 vcc_lo, s0, vcc_lo
	s_wait_alu 0xfffe
	v_add_co_ci_u32_e32 v3, vcc_lo, 0, v3, vcc_lo
	s_or_b32 vcc_lo, s2, s1
	s_wait_alu 0xfffe
	v_add_co_ci_u32_e32 v9, vcc_lo, 0, v9, vcc_lo
	v_cmp_gt_i32_e32 vcc_lo, 31, v11
	s_wait_alu 0xfffd
	v_cndmask_b32_e32 v3, 0x7c00, v3, vcc_lo
	v_cmp_gt_i32_e32 vcc_lo, 31, v10
	s_wait_alu 0xfffd
	v_cndmask_b32_e32 v9, 0x7c00, v9, vcc_lo
	v_cmp_eq_u32_e32 vcc_lo, 0x40f, v11
	s_wait_alu 0xfffd
	v_cndmask_b32_e32 v3, v3, v12, vcc_lo
	v_cmp_eq_u32_e32 vcc_lo, 0x40f, v10
	s_wait_alu 0xfffd
	v_cndmask_b32_e32 v5, v9, v5, vcc_lo
	s_delay_alu instid0(VALU_DEP_3) | instskip(SKIP_1) | instid1(VALU_DEP_3)
	v_and_or_b32 v9, 0x8000, v4, v3
	v_lshlrev_b64_e32 v[3:4], 2, v[7:8]
	v_and_or_b32 v5, 0x8000, v6, v5
	s_delay_alu instid0(VALU_DEP_3) | instskip(NEXT) | instid1(VALU_DEP_3)
	v_and_b32_e32 v6, 0xffff, v9
	v_add_co_u32 v3, vcc_lo, v0, v3
	s_wait_alu 0xfffd
	s_delay_alu instid0(VALU_DEP_4) | instskip(NEXT) | instid1(VALU_DEP_3)
	v_add_co_ci_u32_e32 v4, vcc_lo, v1, v4, vcc_lo
	v_lshl_or_b32 v5, v5, 16, v6
	global_store_b32 v[3:4], v5, off
	global_load_b32 v4, v33, s[8:9] offset:1664
	ds_load_2addr_b32 v[2:3], v2 offset0:160 offset1:192
	s_wait_dscnt 0x0
	v_lshrrev_b32_e32 v5, 16, v2
	s_wait_loadcnt 0x0
	v_lshrrev_b32_e32 v6, 16, v4
	s_delay_alu instid0(VALU_DEP_1) | instskip(SKIP_1) | instid1(VALU_DEP_2)
	v_mul_f16_e32 v7, v5, v6
	v_mul_f16_e32 v6, v2, v6
	v_fmac_f16_e32 v7, v2, v4
	s_delay_alu instid0(VALU_DEP_2) | instskip(NEXT) | instid1(VALU_DEP_2)
	v_fma_f16 v2, v4, v5, -v6
	v_cvt_f32_f16_e32 v4, v7
	s_delay_alu instid0(VALU_DEP_2) | instskip(NEXT) | instid1(VALU_DEP_2)
	v_cvt_f32_f16_e32 v2, v2
	v_cvt_f64_f32_e32 v[4:5], v4
	s_delay_alu instid0(VALU_DEP_2) | instskip(NEXT) | instid1(VALU_DEP_2)
	v_cvt_f64_f32_e32 v[6:7], v2
	v_mul_f64_e32 v[4:5], s[10:11], v[4:5]
	s_delay_alu instid0(VALU_DEP_2) | instskip(NEXT) | instid1(VALU_DEP_2)
	v_mul_f64_e32 v[6:7], s[10:11], v[6:7]
	v_and_or_b32 v2, 0x1ff, v5, v4
	s_delay_alu instid0(VALU_DEP_2)
	v_and_or_b32 v6, 0x1ff, v7, v6
	v_lshrrev_b32_e32 v4, 8, v5
	v_bfe_u32 v10, v5, 20, 11
	v_lshrrev_b32_e32 v8, 8, v7
	v_cmp_ne_u32_e32 vcc_lo, 0, v2
	v_bfe_u32 v11, v7, 20, 11
	v_lshrrev_b32_e32 v5, 16, v5
	v_sub_nc_u32_e32 v9, 0x3f1, v10
	v_lshrrev_b32_e32 v7, 16, v7
	s_wait_alu 0xfffd
	v_cndmask_b32_e64 v2, 0, 1, vcc_lo
	v_cmp_ne_u32_e32 vcc_lo, 0, v6
	v_sub_nc_u32_e32 v12, 0x3f1, v11
	v_add_nc_u32_e32 v11, 0xfffffc10, v11
	s_delay_alu instid0(VALU_DEP_4)
	v_and_or_b32 v4, 0xffe, v4, v2
	s_wait_alu 0xfffd
	v_cndmask_b32_e64 v6, 0, 1, vcc_lo
	v_med3_i32 v2, v9, 0, 13
	v_med3_i32 v12, v12, 0, 13
	v_or_b32_e32 v13, 0x1000, v4
	s_delay_alu instid0(VALU_DEP_4) | instskip(SKIP_1) | instid1(VALU_DEP_3)
	v_and_or_b32 v6, 0xffe, v8, v6
	v_mad_co_u64_u32 v[8:9], null, s4, v36, 0
	v_lshrrev_b32_e32 v15, v2, v13
	s_delay_alu instid0(VALU_DEP_3) | instskip(NEXT) | instid1(VALU_DEP_2)
	v_or_b32_e32 v14, 0x1000, v6
	v_lshlrev_b32_e32 v17, v2, v15
	s_delay_alu instid0(VALU_DEP_2) | instskip(SKIP_1) | instid1(VALU_DEP_3)
	v_lshrrev_b32_e32 v16, v12, v14
	v_mov_b32_e32 v2, v9
	v_cmp_ne_u32_e32 vcc_lo, v17, v13
	s_delay_alu instid0(VALU_DEP_3) | instskip(SKIP_3) | instid1(VALU_DEP_3)
	v_lshlrev_b32_e32 v9, v12, v16
	v_add_nc_u32_e32 v12, 0xfffffc10, v10
	s_wait_alu 0xfffd
	v_cndmask_b32_e64 v13, 0, 1, vcc_lo
	v_cmp_ne_u32_e32 vcc_lo, v9, v14
	v_mad_co_u64_u32 v[9:10], null, s5, v36, v[2:3]
	v_lshl_or_b32 v2, v12, 12, v4
	s_delay_alu instid0(VALU_DEP_4) | instskip(SKIP_4) | instid1(VALU_DEP_3)
	v_or_b32_e32 v10, v15, v13
	s_wait_alu 0xfffd
	v_cndmask_b32_e64 v14, 0, 1, vcc_lo
	v_cmp_gt_i32_e32 vcc_lo, 1, v12
	v_lshl_or_b32 v13, v11, 12, v6
	v_or_b32_e32 v14, v16, v14
	s_wait_alu 0xfffd
	v_cndmask_b32_e32 v2, v2, v10, vcc_lo
	v_cmp_gt_i32_e32 vcc_lo, 1, v11
	s_wait_alu 0xfffd
	v_cndmask_b32_e32 v10, v13, v14, vcc_lo
	v_cmp_ne_u32_e32 vcc_lo, 0, v4
	v_and_b32_e32 v13, 7, v2
	v_lshrrev_b32_e32 v2, 2, v2
	s_delay_alu instid0(VALU_DEP_4)
	v_and_b32_e32 v14, 7, v10
	s_wait_alu 0xfffd
	v_cndmask_b32_e64 v4, 0, 1, vcc_lo
	v_cmp_ne_u32_e32 vcc_lo, 0, v6
	v_cmp_eq_u32_e64 s0, 3, v13
	v_lshrrev_b32_e32 v10, 2, v10
	v_cmp_lt_i32_e64 s1, 5, v14
	v_cmp_eq_u32_e64 s2, 3, v14
	s_wait_alu 0xfffd
	v_cndmask_b32_e64 v6, 0, 1, vcc_lo
	v_cmp_lt_i32_e32 vcc_lo, 5, v13
	v_lshl_or_b32 v4, v4, 9, 0x7c00
	s_delay_alu instid0(VALU_DEP_3)
	v_lshl_or_b32 v6, v6, 9, 0x7c00
	s_or_b32 vcc_lo, s0, vcc_lo
	s_wait_alu 0xfffe
	v_add_co_ci_u32_e32 v2, vcc_lo, 0, v2, vcc_lo
	s_or_b32 vcc_lo, s2, s1
	s_wait_alu 0xfffe
	v_add_co_ci_u32_e32 v10, vcc_lo, 0, v10, vcc_lo
	v_cmp_gt_i32_e32 vcc_lo, 31, v12
	s_wait_alu 0xfffd
	v_cndmask_b32_e32 v2, 0x7c00, v2, vcc_lo
	v_cmp_gt_i32_e32 vcc_lo, 31, v11
	s_wait_alu 0xfffd
	v_cndmask_b32_e32 v10, 0x7c00, v10, vcc_lo
	v_cmp_eq_u32_e32 vcc_lo, 0x40f, v12
	s_wait_alu 0xfffd
	v_cndmask_b32_e32 v2, v2, v4, vcc_lo
	v_cmp_eq_u32_e32 vcc_lo, 0x40f, v11
	s_delay_alu instid0(VALU_DEP_2) | instskip(SKIP_3) | instid1(VALU_DEP_3)
	v_and_or_b32 v2, 0x8000, v5, v2
	s_wait_alu 0xfffd
	v_cndmask_b32_e32 v6, v10, v6, vcc_lo
	v_lshlrev_b64_e32 v[4:5], 2, v[8:9]
	v_and_b32_e32 v2, 0xffff, v2
	s_delay_alu instid0(VALU_DEP_3) | instskip(NEXT) | instid1(VALU_DEP_3)
	v_and_or_b32 v6, 0x8000, v7, v6
	v_add_co_u32 v4, vcc_lo, v0, v4
	s_wait_alu 0xfffd
	s_delay_alu instid0(VALU_DEP_4) | instskip(NEXT) | instid1(VALU_DEP_3)
	v_add_co_ci_u32_e32 v5, vcc_lo, v1, v5, vcc_lo
	v_lshl_or_b32 v2, v6, 16, v2
	global_store_b32 v[4:5], v2, off
	global_load_b32 v2, v33, s[8:9] offset:1792
	v_lshrrev_b32_e32 v4, 16, v3
	s_wait_loadcnt 0x0
	v_lshrrev_b32_e32 v5, 16, v2
	s_delay_alu instid0(VALU_DEP_1) | instskip(SKIP_1) | instid1(VALU_DEP_2)
	v_mul_f16_e32 v6, v4, v5
	v_mul_f16_e32 v5, v3, v5
	v_fmac_f16_e32 v6, v3, v2
	s_delay_alu instid0(VALU_DEP_2) | instskip(NEXT) | instid1(VALU_DEP_2)
	v_fma_f16 v2, v2, v4, -v5
	v_cvt_f32_f16_e32 v3, v6
	s_delay_alu instid0(VALU_DEP_2) | instskip(NEXT) | instid1(VALU_DEP_2)
	v_cvt_f32_f16_e32 v4, v2
	v_cvt_f64_f32_e32 v[2:3], v3
	s_delay_alu instid0(VALU_DEP_2) | instskip(NEXT) | instid1(VALU_DEP_2)
	v_cvt_f64_f32_e32 v[4:5], v4
	v_mul_f64_e32 v[2:3], s[10:11], v[2:3]
	s_delay_alu instid0(VALU_DEP_2) | instskip(NEXT) | instid1(VALU_DEP_2)
	v_mul_f64_e32 v[4:5], s[10:11], v[4:5]
	v_and_or_b32 v2, 0x1ff, v3, v2
	s_delay_alu instid0(VALU_DEP_2)
	v_and_or_b32 v4, 0x1ff, v5, v4
	v_lshrrev_b32_e32 v6, 8, v3
	v_bfe_u32 v8, v3, 20, 11
	v_bfe_u32 v9, v5, 20, 11
	v_cmp_ne_u32_e32 vcc_lo, 0, v2
	v_lshrrev_b32_e32 v7, 8, v5
	v_lshrrev_b32_e32 v5, 16, v5
	v_sub_nc_u32_e32 v10, 0x3f1, v8
	v_sub_nc_u32_e32 v11, 0x3f1, v9
	s_wait_alu 0xfffd
	v_cndmask_b32_e64 v2, 0, 1, vcc_lo
	v_cmp_ne_u32_e32 vcc_lo, 0, v4
	v_add_nc_u32_e32 v9, 0xfffffc10, v9
	s_delay_alu instid0(VALU_DEP_3)
	v_and_or_b32 v12, 0xffe, v6, v2
	s_wait_alu 0xfffd
	v_cndmask_b32_e64 v4, 0, 1, vcc_lo
	v_med3_i32 v2, v10, 0, 13
	v_med3_i32 v10, v11, 0, 13
	v_or_b32_e32 v11, 0x1000, v12
	s_delay_alu instid0(VALU_DEP_4) | instskip(SKIP_1) | instid1(VALU_DEP_3)
	v_and_or_b32 v4, 0xffe, v7, v4
	v_mad_co_u64_u32 v[6:7], null, s4, v35, 0
	v_lshrrev_b32_e32 v14, v2, v11
	s_delay_alu instid0(VALU_DEP_3) | instskip(NEXT) | instid1(VALU_DEP_2)
	v_or_b32_e32 v13, 0x1000, v4
	v_lshlrev_b32_e32 v16, v2, v14
	s_delay_alu instid0(VALU_DEP_2) | instskip(SKIP_1) | instid1(VALU_DEP_3)
	v_lshrrev_b32_e32 v15, v10, v13
	v_mov_b32_e32 v2, v7
	v_cmp_ne_u32_e32 vcc_lo, v16, v11
	s_delay_alu instid0(VALU_DEP_3) | instskip(SKIP_3) | instid1(VALU_DEP_3)
	v_lshlrev_b32_e32 v7, v10, v15
	v_add_nc_u32_e32 v10, 0xfffffc10, v8
	s_wait_alu 0xfffd
	v_cndmask_b32_e64 v11, 0, 1, vcc_lo
	v_cmp_ne_u32_e32 vcc_lo, v7, v13
	v_mad_co_u64_u32 v[7:8], null, s5, v35, v[2:3]
	v_lshl_or_b32 v2, v10, 12, v12
	s_delay_alu instid0(VALU_DEP_4)
	v_or_b32_e32 v8, v14, v11
	s_wait_alu 0xfffd
	v_cndmask_b32_e64 v13, 0, 1, vcc_lo
	v_cmp_gt_i32_e32 vcc_lo, 1, v10
	v_lshl_or_b32 v11, v9, 12, v4
	v_lshrrev_b32_e32 v3, 16, v3
	s_delay_alu instid0(VALU_DEP_4)
	v_or_b32_e32 v13, v15, v13
	s_wait_alu 0xfffd
	v_cndmask_b32_e32 v2, v2, v8, vcc_lo
	v_cmp_gt_i32_e32 vcc_lo, 1, v9
	s_wait_alu 0xfffd
	v_cndmask_b32_e32 v8, v11, v13, vcc_lo
	v_cmp_ne_u32_e32 vcc_lo, 0, v12
	v_and_b32_e32 v12, 7, v2
	v_lshrrev_b32_e32 v2, 2, v2
	s_wait_alu 0xfffd
	v_cndmask_b32_e64 v11, 0, 1, vcc_lo
	v_cmp_ne_u32_e32 vcc_lo, 0, v4
	v_cmp_eq_u32_e64 s0, 3, v12
	s_delay_alu instid0(VALU_DEP_3) | instskip(SKIP_3) | instid1(VALU_DEP_2)
	v_lshl_or_b32 v11, v11, 9, 0x7c00
	s_wait_alu 0xfffd
	v_cndmask_b32_e64 v4, 0, 1, vcc_lo
	v_cmp_lt_i32_e32 vcc_lo, 5, v12
	v_lshl_or_b32 v4, v4, 9, 0x7c00
	s_or_b32 vcc_lo, s0, vcc_lo
	s_wait_alu 0xfffe
	v_add_co_ci_u32_e32 v2, vcc_lo, 0, v2, vcc_lo
	v_and_b32_e32 v13, 7, v8
	v_lshrrev_b32_e32 v8, 2, v8
	s_delay_alu instid0(VALU_DEP_2) | instskip(SKIP_1) | instid1(VALU_DEP_1)
	v_cmp_lt_i32_e64 s1, 5, v13
	v_cmp_eq_u32_e64 s2, 3, v13
	s_or_b32 vcc_lo, s2, s1
	s_wait_alu 0xfffe
	v_add_co_ci_u32_e32 v8, vcc_lo, 0, v8, vcc_lo
	v_cmp_gt_i32_e32 vcc_lo, 31, v10
	s_wait_alu 0xfffd
	v_cndmask_b32_e32 v2, 0x7c00, v2, vcc_lo
	v_cmp_gt_i32_e32 vcc_lo, 31, v9
	s_wait_alu 0xfffd
	v_cndmask_b32_e32 v8, 0x7c00, v8, vcc_lo
	v_cmp_eq_u32_e32 vcc_lo, 0x40f, v10
	s_wait_alu 0xfffd
	v_cndmask_b32_e32 v2, v2, v11, vcc_lo
	v_cmp_eq_u32_e32 vcc_lo, 0x40f, v9
	s_wait_alu 0xfffd
	v_cndmask_b32_e32 v4, v8, v4, vcc_lo
	s_delay_alu instid0(VALU_DEP_3) | instskip(SKIP_1) | instid1(VALU_DEP_3)
	v_and_or_b32 v8, 0x8000, v3, v2
	v_lshlrev_b64_e32 v[2:3], 2, v[6:7]
	v_and_or_b32 v4, 0x8000, v5, v4
	s_delay_alu instid0(VALU_DEP_3) | instskip(NEXT) | instid1(VALU_DEP_3)
	v_and_b32_e32 v5, 0xffff, v8
	v_add_co_u32 v2, vcc_lo, v0, v2
	s_wait_alu 0xfffd
	s_delay_alu instid0(VALU_DEP_4) | instskip(NEXT) | instid1(VALU_DEP_3)
	v_add_co_ci_u32_e32 v3, vcc_lo, v1, v3, vcc_lo
	v_lshl_or_b32 v4, v4, 16, v5
	global_store_b32 v[2:3], v4, off
	global_load_b32 v4, v33, s[8:9] offset:1920
	v_add_nc_u32_e32 v2, 0x600, v51
	ds_load_2addr_b32 v[2:3], v2 offset0:96 offset1:128
	s_wait_dscnt 0x0
	v_lshrrev_b32_e32 v5, 16, v2
	s_wait_loadcnt 0x0
	v_lshrrev_b32_e32 v6, 16, v4
	s_delay_alu instid0(VALU_DEP_1) | instskip(SKIP_1) | instid1(VALU_DEP_2)
	v_mul_f16_e32 v7, v5, v6
	v_mul_f16_e32 v6, v2, v6
	v_fmac_f16_e32 v7, v2, v4
	s_delay_alu instid0(VALU_DEP_2) | instskip(NEXT) | instid1(VALU_DEP_2)
	v_fma_f16 v2, v4, v5, -v6
	v_cvt_f32_f16_e32 v4, v7
	s_delay_alu instid0(VALU_DEP_2) | instskip(NEXT) | instid1(VALU_DEP_2)
	v_cvt_f32_f16_e32 v2, v2
	v_cvt_f64_f32_e32 v[4:5], v4
	s_delay_alu instid0(VALU_DEP_2) | instskip(NEXT) | instid1(VALU_DEP_2)
	v_cvt_f64_f32_e32 v[6:7], v2
	v_mul_f64_e32 v[4:5], s[10:11], v[4:5]
	s_delay_alu instid0(VALU_DEP_2) | instskip(NEXT) | instid1(VALU_DEP_2)
	v_mul_f64_e32 v[6:7], s[10:11], v[6:7]
	v_and_or_b32 v2, 0x1ff, v5, v4
	s_delay_alu instid0(VALU_DEP_2)
	v_and_or_b32 v6, 0x1ff, v7, v6
	v_lshrrev_b32_e32 v4, 8, v5
	v_bfe_u32 v10, v5, 20, 11
	v_lshrrev_b32_e32 v8, 8, v7
	v_cmp_ne_u32_e32 vcc_lo, 0, v2
	v_bfe_u32 v11, v7, 20, 11
	v_lshrrev_b32_e32 v5, 16, v5
	v_sub_nc_u32_e32 v9, 0x3f1, v10
	v_lshrrev_b32_e32 v7, 16, v7
	s_wait_alu 0xfffd
	v_cndmask_b32_e64 v2, 0, 1, vcc_lo
	v_cmp_ne_u32_e32 vcc_lo, 0, v6
	v_sub_nc_u32_e32 v12, 0x3f1, v11
	v_add_nc_u32_e32 v11, 0xfffffc10, v11
	s_delay_alu instid0(VALU_DEP_4)
	v_and_or_b32 v4, 0xffe, v4, v2
	s_wait_alu 0xfffd
	v_cndmask_b32_e64 v6, 0, 1, vcc_lo
	v_med3_i32 v2, v9, 0, 13
	v_med3_i32 v12, v12, 0, 13
	v_or_b32_e32 v13, 0x1000, v4
	s_delay_alu instid0(VALU_DEP_4) | instskip(SKIP_1) | instid1(VALU_DEP_3)
	v_and_or_b32 v6, 0xffe, v8, v6
	v_mad_co_u64_u32 v[8:9], null, s4, v34, 0
	v_lshrrev_b32_e32 v15, v2, v13
	s_delay_alu instid0(VALU_DEP_3) | instskip(NEXT) | instid1(VALU_DEP_2)
	v_or_b32_e32 v14, 0x1000, v6
	v_dual_mov_b32 v2, v9 :: v_dual_lshlrev_b32 v17, v2, v15
	s_delay_alu instid0(VALU_DEP_2) | instskip(NEXT) | instid1(VALU_DEP_2)
	v_lshrrev_b32_e32 v16, v12, v14
	v_cmp_ne_u32_e32 vcc_lo, v17, v13
	s_delay_alu instid0(VALU_DEP_2) | instskip(SKIP_3) | instid1(VALU_DEP_3)
	v_lshlrev_b32_e32 v9, v12, v16
	v_add_nc_u32_e32 v12, 0xfffffc10, v10
	s_wait_alu 0xfffd
	v_cndmask_b32_e64 v13, 0, 1, vcc_lo
	v_cmp_ne_u32_e32 vcc_lo, v9, v14
	v_mad_co_u64_u32 v[9:10], null, s5, v34, v[2:3]
	v_lshl_or_b32 v2, v12, 12, v4
	s_delay_alu instid0(VALU_DEP_4) | instskip(SKIP_4) | instid1(VALU_DEP_3)
	v_or_b32_e32 v10, v15, v13
	s_wait_alu 0xfffd
	v_cndmask_b32_e64 v14, 0, 1, vcc_lo
	v_cmp_gt_i32_e32 vcc_lo, 1, v12
	v_lshl_or_b32 v13, v11, 12, v6
	v_or_b32_e32 v14, v16, v14
	s_wait_alu 0xfffd
	v_cndmask_b32_e32 v2, v2, v10, vcc_lo
	v_cmp_gt_i32_e32 vcc_lo, 1, v11
	s_wait_alu 0xfffd
	v_cndmask_b32_e32 v10, v13, v14, vcc_lo
	v_cmp_ne_u32_e32 vcc_lo, 0, v4
	s_delay_alu instid0(VALU_DEP_2)
	v_and_b32_e32 v14, 7, v10
	s_wait_alu 0xfffd
	v_cndmask_b32_e64 v4, 0, 1, vcc_lo
	v_cmp_ne_u32_e32 vcc_lo, 0, v6
	v_lshrrev_b32_e32 v10, 2, v10
	v_cmp_lt_i32_e64 s1, 5, v14
	s_delay_alu instid0(VALU_DEP_4)
	v_lshl_or_b32 v4, v4, 9, 0x7c00
	v_and_b32_e32 v13, 7, v2
	s_wait_alu 0xfffd
	v_cndmask_b32_e64 v6, 0, 1, vcc_lo
	v_lshrrev_b32_e32 v2, 2, v2
	v_cmp_eq_u32_e64 s2, 3, v14
	v_cmp_lt_i32_e32 vcc_lo, 5, v13
	v_cmp_eq_u32_e64 s0, 3, v13
	v_lshl_or_b32 v6, v6, 9, 0x7c00
	s_delay_alu instid0(VALU_DEP_2)
	s_or_b32 vcc_lo, s0, vcc_lo
	s_wait_alu 0xfffe
	v_add_co_ci_u32_e32 v2, vcc_lo, 0, v2, vcc_lo
	s_or_b32 vcc_lo, s2, s1
	s_wait_alu 0xfffe
	v_add_co_ci_u32_e32 v10, vcc_lo, 0, v10, vcc_lo
	v_cmp_gt_i32_e32 vcc_lo, 31, v12
	s_wait_alu 0xfffd
	v_cndmask_b32_e32 v2, 0x7c00, v2, vcc_lo
	v_cmp_gt_i32_e32 vcc_lo, 31, v11
	s_wait_alu 0xfffd
	v_cndmask_b32_e32 v10, 0x7c00, v10, vcc_lo
	v_cmp_eq_u32_e32 vcc_lo, 0x40f, v12
	s_wait_alu 0xfffd
	v_cndmask_b32_e32 v2, v2, v4, vcc_lo
	v_cmp_eq_u32_e32 vcc_lo, 0x40f, v11
	s_delay_alu instid0(VALU_DEP_2) | instskip(SKIP_3) | instid1(VALU_DEP_3)
	v_and_or_b32 v2, 0x8000, v5, v2
	s_wait_alu 0xfffd
	v_cndmask_b32_e32 v6, v10, v6, vcc_lo
	v_lshlrev_b64_e32 v[4:5], 2, v[8:9]
	v_and_b32_e32 v2, 0xffff, v2
	s_delay_alu instid0(VALU_DEP_3) | instskip(NEXT) | instid1(VALU_DEP_3)
	v_and_or_b32 v6, 0x8000, v7, v6
	v_add_co_u32 v4, vcc_lo, v0, v4
	s_wait_alu 0xfffd
	s_delay_alu instid0(VALU_DEP_4) | instskip(NEXT) | instid1(VALU_DEP_3)
	v_add_co_ci_u32_e32 v5, vcc_lo, v1, v5, vcc_lo
	v_lshl_or_b32 v2, v6, 16, v2
	global_store_b32 v[4:5], v2, off
	global_load_b32 v2, v33, s[8:9] offset:2048
	v_lshrrev_b32_e32 v4, 16, v3
	s_wait_loadcnt 0x0
	v_lshrrev_b32_e32 v5, 16, v2
	s_delay_alu instid0(VALU_DEP_1) | instskip(SKIP_1) | instid1(VALU_DEP_2)
	v_mul_f16_e32 v6, v4, v5
	v_mul_f16_e32 v5, v3, v5
	v_fmac_f16_e32 v6, v3, v2
	s_delay_alu instid0(VALU_DEP_2) | instskip(NEXT) | instid1(VALU_DEP_2)
	v_fma_f16 v2, v2, v4, -v5
	v_cvt_f32_f16_e32 v3, v6
	s_delay_alu instid0(VALU_DEP_2) | instskip(NEXT) | instid1(VALU_DEP_2)
	v_cvt_f32_f16_e32 v4, v2
	v_cvt_f64_f32_e32 v[2:3], v3
	s_delay_alu instid0(VALU_DEP_2) | instskip(NEXT) | instid1(VALU_DEP_2)
	v_cvt_f64_f32_e32 v[4:5], v4
	v_mul_f64_e32 v[2:3], s[10:11], v[2:3]
	s_delay_alu instid0(VALU_DEP_2) | instskip(NEXT) | instid1(VALU_DEP_2)
	v_mul_f64_e32 v[4:5], s[10:11], v[4:5]
	v_and_or_b32 v2, 0x1ff, v3, v2
	s_delay_alu instid0(VALU_DEP_2)
	v_and_or_b32 v4, 0x1ff, v5, v4
	v_lshrrev_b32_e32 v6, 8, v3
	v_bfe_u32 v8, v3, 20, 11
	v_bfe_u32 v9, v5, 20, 11
	v_cmp_ne_u32_e32 vcc_lo, 0, v2
	v_lshrrev_b32_e32 v7, 8, v5
	v_lshrrev_b32_e32 v5, 16, v5
	v_sub_nc_u32_e32 v10, 0x3f1, v8
	v_sub_nc_u32_e32 v11, 0x3f1, v9
	s_wait_alu 0xfffd
	v_cndmask_b32_e64 v2, 0, 1, vcc_lo
	v_cmp_ne_u32_e32 vcc_lo, 0, v4
	v_add_nc_u32_e32 v9, 0xfffffc10, v9
	s_delay_alu instid0(VALU_DEP_3)
	v_and_or_b32 v12, 0xffe, v6, v2
	s_wait_alu 0xfffd
	v_cndmask_b32_e64 v4, 0, 1, vcc_lo
	v_med3_i32 v2, v10, 0, 13
	v_med3_i32 v10, v11, 0, 13
	v_or_b32_e32 v11, 0x1000, v12
	s_delay_alu instid0(VALU_DEP_4) | instskip(SKIP_1) | instid1(VALU_DEP_3)
	v_and_or_b32 v4, 0xffe, v7, v4
	v_mad_co_u64_u32 v[6:7], null, s4, v32, 0
	v_lshrrev_b32_e32 v14, v2, v11
	s_delay_alu instid0(VALU_DEP_3) | instskip(NEXT) | instid1(VALU_DEP_2)
	v_or_b32_e32 v13, 0x1000, v4
	v_lshlrev_b32_e32 v16, v2, v14
	s_delay_alu instid0(VALU_DEP_2) | instskip(SKIP_1) | instid1(VALU_DEP_3)
	v_lshrrev_b32_e32 v15, v10, v13
	v_mov_b32_e32 v2, v7
	v_cmp_ne_u32_e32 vcc_lo, v16, v11
	s_delay_alu instid0(VALU_DEP_3) | instskip(SKIP_3) | instid1(VALU_DEP_3)
	v_lshlrev_b32_e32 v7, v10, v15
	v_add_nc_u32_e32 v10, 0xfffffc10, v8
	s_wait_alu 0xfffd
	v_cndmask_b32_e64 v11, 0, 1, vcc_lo
	v_cmp_ne_u32_e32 vcc_lo, v7, v13
	v_mad_co_u64_u32 v[7:8], null, s5, v32, v[2:3]
	v_lshl_or_b32 v2, v10, 12, v12
	s_delay_alu instid0(VALU_DEP_4)
	v_or_b32_e32 v8, v14, v11
	s_wait_alu 0xfffd
	v_cndmask_b32_e64 v13, 0, 1, vcc_lo
	v_cmp_gt_i32_e32 vcc_lo, 1, v10
	v_lshl_or_b32 v11, v9, 12, v4
	v_lshrrev_b32_e32 v3, 16, v3
	s_delay_alu instid0(VALU_DEP_4)
	v_or_b32_e32 v13, v15, v13
	s_wait_alu 0xfffd
	v_cndmask_b32_e32 v2, v2, v8, vcc_lo
	v_cmp_gt_i32_e32 vcc_lo, 1, v9
	s_wait_alu 0xfffd
	v_cndmask_b32_e32 v8, v11, v13, vcc_lo
	v_cmp_ne_u32_e32 vcc_lo, 0, v12
	v_and_b32_e32 v12, 7, v2
	v_lshrrev_b32_e32 v2, 2, v2
	s_delay_alu instid0(VALU_DEP_4)
	v_and_b32_e32 v13, 7, v8
	s_wait_alu 0xfffd
	v_cndmask_b32_e64 v11, 0, 1, vcc_lo
	v_cmp_ne_u32_e32 vcc_lo, 0, v4
	v_cmp_eq_u32_e64 s0, 3, v12
	v_lshrrev_b32_e32 v8, 2, v8
	v_cmp_lt_i32_e64 s1, 5, v13
	v_cmp_eq_u32_e64 s2, 3, v13
	s_wait_alu 0xfffd
	v_cndmask_b32_e64 v4, 0, 1, vcc_lo
	v_cmp_lt_i32_e32 vcc_lo, 5, v12
	v_lshl_or_b32 v11, v11, 9, 0x7c00
	s_delay_alu instid0(VALU_DEP_3)
	v_lshl_or_b32 v4, v4, 9, 0x7c00
	s_or_b32 vcc_lo, s0, vcc_lo
	s_wait_alu 0xfffe
	v_add_co_ci_u32_e32 v2, vcc_lo, 0, v2, vcc_lo
	s_or_b32 vcc_lo, s2, s1
	s_wait_alu 0xfffe
	v_add_co_ci_u32_e32 v8, vcc_lo, 0, v8, vcc_lo
	v_cmp_gt_i32_e32 vcc_lo, 31, v10
	s_wait_alu 0xfffd
	v_cndmask_b32_e32 v2, 0x7c00, v2, vcc_lo
	v_cmp_gt_i32_e32 vcc_lo, 31, v9
	s_wait_alu 0xfffd
	v_cndmask_b32_e32 v8, 0x7c00, v8, vcc_lo
	v_cmp_eq_u32_e32 vcc_lo, 0x40f, v10
	s_wait_alu 0xfffd
	v_cndmask_b32_e32 v2, v2, v11, vcc_lo
	v_cmp_eq_u32_e32 vcc_lo, 0x40f, v9
	s_delay_alu instid0(VALU_DEP_2) | instskip(SKIP_2) | instid1(VALU_DEP_1)
	v_and_or_b32 v2, 0x8000, v3, v2
	s_wait_alu 0xfffd
	v_cndmask_b32_e32 v4, v8, v4, vcc_lo
	v_and_or_b32 v4, 0x8000, v5, v4
	s_delay_alu instid0(VALU_DEP_3) | instskip(SKIP_1) | instid1(VALU_DEP_2)
	v_and_b32_e32 v5, 0xffff, v2
	v_lshlrev_b64_e32 v[2:3], 2, v[6:7]
	v_lshl_or_b32 v4, v4, 16, v5
	s_delay_alu instid0(VALU_DEP_2) | instskip(SKIP_1) | instid1(VALU_DEP_3)
	v_add_co_u32 v0, vcc_lo, v0, v2
	s_wait_alu 0xfffd
	v_add_co_ci_u32_e32 v1, vcc_lo, v1, v3, vcc_lo
	global_store_b32 v[0:1], v4, off
.LBB0_15:
	s_nop 0
	s_sendmsg sendmsg(MSG_DEALLOC_VGPRS)
	s_endpgm
	.section	.rodata,"a",@progbits
	.p2align	6, 0x0
	.amdhsa_kernel bluestein_single_back_len544_dim1_half_op_CI_CI
		.amdhsa_group_segment_fixed_size 6528
		.amdhsa_private_segment_fixed_size 0
		.amdhsa_kernarg_size 104
		.amdhsa_user_sgpr_count 2
		.amdhsa_user_sgpr_dispatch_ptr 0
		.amdhsa_user_sgpr_queue_ptr 0
		.amdhsa_user_sgpr_kernarg_segment_ptr 1
		.amdhsa_user_sgpr_dispatch_id 0
		.amdhsa_user_sgpr_private_segment_size 0
		.amdhsa_wavefront_size32 1
		.amdhsa_uses_dynamic_stack 0
		.amdhsa_enable_private_segment 0
		.amdhsa_system_sgpr_workgroup_id_x 1
		.amdhsa_system_sgpr_workgroup_id_y 0
		.amdhsa_system_sgpr_workgroup_id_z 0
		.amdhsa_system_sgpr_workgroup_info 0
		.amdhsa_system_vgpr_workitem_id 0
		.amdhsa_next_free_vgpr 231
		.amdhsa_next_free_sgpr 14
		.amdhsa_reserve_vcc 1
		.amdhsa_float_round_mode_32 0
		.amdhsa_float_round_mode_16_64 0
		.amdhsa_float_denorm_mode_32 3
		.amdhsa_float_denorm_mode_16_64 3
		.amdhsa_fp16_overflow 0
		.amdhsa_workgroup_processor_mode 1
		.amdhsa_memory_ordered 1
		.amdhsa_forward_progress 0
		.amdhsa_round_robin_scheduling 0
		.amdhsa_exception_fp_ieee_invalid_op 0
		.amdhsa_exception_fp_denorm_src 0
		.amdhsa_exception_fp_ieee_div_zero 0
		.amdhsa_exception_fp_ieee_overflow 0
		.amdhsa_exception_fp_ieee_underflow 0
		.amdhsa_exception_fp_ieee_inexact 0
		.amdhsa_exception_int_div_zero 0
	.end_amdhsa_kernel
	.text
.Lfunc_end0:
	.size	bluestein_single_back_len544_dim1_half_op_CI_CI, .Lfunc_end0-bluestein_single_back_len544_dim1_half_op_CI_CI
                                        ; -- End function
	.section	.AMDGPU.csdata,"",@progbits
; Kernel info:
; codeLenInByte = 35416
; NumSgprs: 16
; NumVgprs: 231
; ScratchSize: 0
; MemoryBound: 0
; FloatMode: 240
; IeeeMode: 1
; LDSByteSize: 6528 bytes/workgroup (compile time only)
; SGPRBlocks: 1
; VGPRBlocks: 28
; NumSGPRsForWavesPerEU: 16
; NumVGPRsForWavesPerEU: 231
; Occupancy: 6
; WaveLimiterHint : 1
; COMPUTE_PGM_RSRC2:SCRATCH_EN: 0
; COMPUTE_PGM_RSRC2:USER_SGPR: 2
; COMPUTE_PGM_RSRC2:TRAP_HANDLER: 0
; COMPUTE_PGM_RSRC2:TGID_X_EN: 1
; COMPUTE_PGM_RSRC2:TGID_Y_EN: 0
; COMPUTE_PGM_RSRC2:TGID_Z_EN: 0
; COMPUTE_PGM_RSRC2:TIDIG_COMP_CNT: 0
	.text
	.p2alignl 7, 3214868480
	.fill 96, 4, 3214868480
	.type	__hip_cuid_177b4852efc6bc72,@object ; @__hip_cuid_177b4852efc6bc72
	.section	.bss,"aw",@nobits
	.globl	__hip_cuid_177b4852efc6bc72
__hip_cuid_177b4852efc6bc72:
	.byte	0                               ; 0x0
	.size	__hip_cuid_177b4852efc6bc72, 1

	.ident	"AMD clang version 19.0.0git (https://github.com/RadeonOpenCompute/llvm-project roc-6.4.0 25133 c7fe45cf4b819c5991fe208aaa96edf142730f1d)"
	.section	".note.GNU-stack","",@progbits
	.addrsig
	.addrsig_sym __hip_cuid_177b4852efc6bc72
	.amdgpu_metadata
---
amdhsa.kernels:
  - .args:
      - .actual_access:  read_only
        .address_space:  global
        .offset:         0
        .size:           8
        .value_kind:     global_buffer
      - .actual_access:  read_only
        .address_space:  global
        .offset:         8
        .size:           8
        .value_kind:     global_buffer
      - .actual_access:  read_only
        .address_space:  global
        .offset:         16
        .size:           8
        .value_kind:     global_buffer
      - .actual_access:  read_only
        .address_space:  global
        .offset:         24
        .size:           8
        .value_kind:     global_buffer
      - .actual_access:  read_only
        .address_space:  global
        .offset:         32
        .size:           8
        .value_kind:     global_buffer
      - .offset:         40
        .size:           8
        .value_kind:     by_value
      - .address_space:  global
        .offset:         48
        .size:           8
        .value_kind:     global_buffer
      - .address_space:  global
        .offset:         56
        .size:           8
        .value_kind:     global_buffer
      - .address_space:  global
        .offset:         64
        .size:           8
        .value_kind:     global_buffer
      - .address_space:  global
        .offset:         72
        .size:           8
        .value_kind:     global_buffer
      - .offset:         80
        .size:           4
        .value_kind:     by_value
      - .address_space:  global
        .offset:         88
        .size:           8
        .value_kind:     global_buffer
      - .address_space:  global
        .offset:         96
        .size:           8
        .value_kind:     global_buffer
    .group_segment_fixed_size: 6528
    .kernarg_segment_align: 8
    .kernarg_segment_size: 104
    .language:       OpenCL C
    .language_version:
      - 2
      - 0
    .max_flat_workgroup_size: 102
    .name:           bluestein_single_back_len544_dim1_half_op_CI_CI
    .private_segment_fixed_size: 0
    .sgpr_count:     16
    .sgpr_spill_count: 0
    .symbol:         bluestein_single_back_len544_dim1_half_op_CI_CI.kd
    .uniform_work_group_size: 1
    .uses_dynamic_stack: false
    .vgpr_count:     231
    .vgpr_spill_count: 0
    .wavefront_size: 32
    .workgroup_processor_mode: 1
amdhsa.target:   amdgcn-amd-amdhsa--gfx1201
amdhsa.version:
  - 1
  - 2
...

	.end_amdgpu_metadata
